;; amdgpu-corpus repo=ROCm/rocFFT kind=compiled arch=gfx1201 opt=O3
	.text
	.amdgcn_target "amdgcn-amd-amdhsa--gfx1201"
	.amdhsa_code_object_version 6
	.protected	fft_rtc_fwd_len112_factors_4_4_7_wgs_133_tpt_7_dim2_sp_ip_CI_sbcc_twdbase8_2step_dirReg ; -- Begin function fft_rtc_fwd_len112_factors_4_4_7_wgs_133_tpt_7_dim2_sp_ip_CI_sbcc_twdbase8_2step_dirReg
	.globl	fft_rtc_fwd_len112_factors_4_4_7_wgs_133_tpt_7_dim2_sp_ip_CI_sbcc_twdbase8_2step_dirReg
	.p2align	8
	.type	fft_rtc_fwd_len112_factors_4_4_7_wgs_133_tpt_7_dim2_sp_ip_CI_sbcc_twdbase8_2step_dirReg,@function
fft_rtc_fwd_len112_factors_4_4_7_wgs_133_tpt_7_dim2_sp_ip_CI_sbcc_twdbase8_2step_dirReg: ; @fft_rtc_fwd_len112_factors_4_4_7_wgs_133_tpt_7_dim2_sp_ip_CI_sbcc_twdbase8_2step_dirReg
; %bb.0:
	s_load_b128 s[4:7], s[0:1], 0x10
	s_mov_b32 s3, 0
	s_mov_b32 s8, 0x50d6f500
	;; [unrolled: 1-line block ×4, first 2 shown]
	s_movk_i32 s10, 0xffed
	s_add_nc_u64 s[8:9], s[2:3], s[8:9]
	s_mov_b32 s11, -1
	s_add_co_i32 s9, s9, 0xd794330
	s_mov_b32 s18, -1
	s_mul_u64 s[12:13], s[8:9], s[10:11]
	s_delay_alu instid0(SALU_CYCLE_1)
	s_mul_hi_u32 s2, s8, s12
	s_mul_i32 s15, s9, s12
	s_mul_hi_u32 s14, s9, s12
	s_mul_hi_u32 s16, s9, s13
	s_mul_i32 s12, s9, s13
	s_wait_kmcnt 0x0
	s_load_b64 s[10:11], s[4:5], 0x8
	s_mul_hi_u32 s5, s8, s13
	s_mul_i32 s4, s8, s13
	s_delay_alu instid0(SALU_CYCLE_1) | instskip(NEXT) | instid1(SALU_CYCLE_1)
	s_add_nc_u64 s[4:5], s[2:3], s[4:5]
	s_add_co_u32 s2, s4, s15
	s_add_co_ci_u32 s2, s5, s14
	s_add_co_ci_u32 s13, s16, 0
	s_mov_b64 s[16:17], 0
	s_add_nc_u64 s[4:5], s[2:3], s[12:13]
	s_delay_alu instid0(SALU_CYCLE_1) | instskip(NEXT) | instid1(VALU_DEP_1)
	v_add_co_u32 v1, s2, s8, s4
	s_cmp_lg_u32 s2, 0
	s_add_co_ci_u32 s12, s9, s5
	s_delay_alu instid0(VALU_DEP_1)
	v_readfirstlane_b32 s13, v1
	s_wait_kmcnt 0x0
	s_add_nc_u64 s[4:5], s[10:11], -1
	s_wait_alu 0xfffe
	s_mul_hi_u32 s9, s4, s12
	s_mul_i32 s8, s4, s12
	s_mul_hi_u32 s2, s4, s13
	s_mul_hi_u32 s15, s5, s13
	s_mul_i32 s13, s5, s13
	s_wait_alu 0xfffe
	s_add_nc_u64 s[8:9], s[2:3], s[8:9]
	s_mul_hi_u32 s14, s5, s12
	s_wait_alu 0xfffe
	s_add_co_u32 s2, s8, s13
	s_add_co_ci_u32 s2, s9, s15
	s_mul_i32 s12, s5, s12
	s_add_co_ci_u32 s13, s14, 0
	s_delay_alu instid0(SALU_CYCLE_1) | instskip(NEXT) | instid1(SALU_CYCLE_1)
	s_add_nc_u64 s[12:13], s[2:3], s[12:13]
	s_mul_u64 s[8:9], s[12:13], 19
	s_wait_alu 0xfffe
	v_sub_co_u32 v1, s2, s4, s8
	s_delay_alu instid0(VALU_DEP_1) | instskip(SKIP_1) | instid1(VALU_DEP_1)
	s_cmp_lg_u32 s2, 0
	s_sub_co_ci_u32 s14, s5, s9
	v_sub_co_u32 v2, s4, v1, 19
	s_delay_alu instid0(VALU_DEP_1) | instskip(SKIP_2) | instid1(VALU_DEP_2)
	s_cmp_lg_u32 s4, 0
	v_readfirstlane_b32 s15, v1
	s_sub_co_ci_u32 s8, s14, 0
	v_readfirstlane_b32 s2, v2
	s_add_nc_u64 s[4:5], s[12:13], 1
	s_delay_alu instid0(VALU_DEP_1)
	s_cmp_gt_u32 s2, 18
	s_cselect_b32 s2, -1, 0
	s_wait_alu 0xfffe
	s_cmp_eq_u32 s8, 0
	s_add_nc_u64 s[8:9], s[12:13], 2
	s_cselect_b32 s2, s2, -1
	s_delay_alu instid0(SALU_CYCLE_1)
	s_cmp_lg_u32 s2, 0
	s_wait_alu 0xfffe
	s_cselect_b32 s2, s8, s4
	s_cselect_b32 s4, s9, s5
	s_cmp_gt_u32 s15, 18
	s_load_b64 s[8:9], s[6:7], 0x0
	s_cselect_b32 s5, -1, 0
	s_cmp_eq_u32 s14, 0
	s_wait_alu 0xfffe
	s_cselect_b32 s5, s5, -1
	s_wait_alu 0xfffe
	s_cmp_lg_u32 s5, 0
	s_cselect_b32 s5, s4, s13
	s_cselect_b32 s4, s2, s12
	s_mov_b32 s2, ttmp9
	s_wait_alu 0xfffe
	s_add_nc_u64 s[12:13], s[4:5], 1
	s_delay_alu instid0(SALU_CYCLE_1) | instskip(NEXT) | instid1(VALU_DEP_1)
	v_cmp_lt_u64_e64 s4, s[2:3], s[12:13]
	s_and_b32 vcc_lo, exec_lo, s4
	s_cbranch_vccnz .LBB0_2
; %bb.1:
	v_cvt_f32_u32_e32 v1, s12
	s_sub_co_i32 s5, 0, s12
	s_mov_b32 s17, s3
	s_delay_alu instid0(VALU_DEP_1) | instskip(NEXT) | instid1(TRANS32_DEP_1)
	v_rcp_iflag_f32_e32 v1, v1
	v_mul_f32_e32 v1, 0x4f7ffffe, v1
	s_delay_alu instid0(VALU_DEP_1) | instskip(NEXT) | instid1(VALU_DEP_1)
	v_cvt_u32_f32_e32 v1, v1
	v_readfirstlane_b32 s4, v1
	s_wait_alu 0xfffe
	s_delay_alu instid0(VALU_DEP_1)
	s_mul_i32 s5, s5, s4
	s_wait_alu 0xfffe
	s_mul_hi_u32 s5, s4, s5
	s_wait_alu 0xfffe
	s_add_co_i32 s4, s4, s5
	s_wait_alu 0xfffe
	s_mul_hi_u32 s4, s2, s4
	s_wait_alu 0xfffe
	s_mul_i32 s5, s4, s12
	s_add_co_i32 s14, s4, 1
	s_wait_alu 0xfffe
	s_sub_co_i32 s5, s2, s5
	s_wait_alu 0xfffe
	s_sub_co_i32 s15, s5, s12
	s_cmp_ge_u32 s5, s12
	s_cselect_b32 s4, s14, s4
	s_cselect_b32 s5, s15, s5
	s_wait_alu 0xfffe
	s_add_co_i32 s14, s4, 1
	s_cmp_ge_u32 s5, s12
	s_cselect_b32 s16, s14, s4
.LBB0_2:
	v_mul_u32_u24_e32 v1, 0xd7a, v0
	s_load_b128 s[4:7], s[6:7], 0x8
	s_mul_u64 s[12:13], s[16:17], s[12:13]
	s_wait_alu 0xfffe
	s_sub_nc_u64 s[2:3], s[2:3], s[12:13]
	v_lshrrev_b32_e32 v106, 16, v1
	s_clause 0x1
	s_load_b64 s[14:15], s[0:1], 0x0
	s_load_b64 s[12:13], s[0:1], 0x50
	s_mul_u64 s[20:21], s[2:3], 19
	s_delay_alu instid0(SALU_CYCLE_1)
	s_add_nc_u64 s[2:3], s[20:21], 19
	v_mul_lo_u16 v1, v106, 19
	s_wait_alu 0xfffe
	v_cmp_gt_u64_e64 s19, s[2:3], s[10:11]
	v_cmp_le_u64_e64 s3, s[2:3], s[10:11]
	v_add_nc_u32_e32 v33, 7, v106
	v_add_nc_u32_e32 v34, 14, v106
	v_sub_nc_u16 v1, v0, v1
	v_add_nc_u32_e32 v35, 21, v106
	s_and_b32 vcc_lo, exec_lo, s19
	s_delay_alu instid0(VALU_DEP_2) | instskip(SKIP_3) | instid1(SALU_CYCLE_1)
	v_and_b32_e32 v107, 0xffff, v1
	s_wait_kmcnt 0x0
	s_mul_u64 s[22:23], s[20:21], s[4:5]
	s_mul_u64 s[6:7], s[6:7], s[16:17]
	s_add_nc_u64 s[6:7], s[6:7], s[22:23]
	v_add_co_u32 v49, s2, s20, v107
	s_wait_alu 0xf1ff
	v_add_co_ci_u32_e64 v50, null, s21, 0, s2
	s_cbranch_vccnz .LBB0_4
; %bb.3:
	v_mad_co_u64_u32 v[1:2], null, s4, v107, 0
	v_mad_co_u64_u32 v[3:4], null, s8, v106, 0
	v_add_nc_u32_e32 v11, 28, v106
	v_add_nc_u32_e32 v12, 56, v106
	s_lshl_b64 s[16:17], s[6:7], 3
	v_add_nc_u32_e32 v27, 42, v106
	s_add_nc_u64 s[16:17], s[12:13], s[16:17]
	v_mad_co_u64_u32 v[5:6], null, s8, v11, 0
	v_mad_co_u64_u32 v[7:8], null, s5, v107, v[2:3]
	v_add_nc_u32_e32 v13, 0x54, v106
	v_add_nc_u32_e32 v32, 49, v106
	;; [unrolled: 1-line block ×3, first 2 shown]
	v_mad_co_u64_u32 v[8:9], null, s9, v106, v[4:5]
	v_mov_b32_e32 v2, v7
	v_mov_b32_e32 v4, v6
	v_mad_co_u64_u32 v[9:10], null, s8, v12, 0
	v_add_nc_u32_e32 v21, 63, v106
	s_delay_alu instid0(VALU_DEP_4) | instskip(NEXT) | instid1(VALU_DEP_4)
	v_lshlrev_b64_e32 v[1:2], 3, v[1:2]
	v_mad_co_u64_u32 v[6:7], null, s9, v11, v[4:5]
	v_mov_b32_e32 v4, v8
	v_mad_co_u64_u32 v[7:8], null, s8, v13, 0
	s_delay_alu instid0(VALU_DEP_4) | instskip(NEXT) | instid1(VALU_DEP_3)
	v_add_co_u32 v43, vcc_lo, s16, v1
	v_lshlrev_b64_e32 v[3:4], 3, v[3:4]
	v_add_co_ci_u32_e32 v44, vcc_lo, s17, v2, vcc_lo
	v_mad_co_u64_u32 v[1:2], null, s9, v12, v[10:11]
	v_mad_co_u64_u32 v[11:12], null, s8, v51, 0
	v_mov_b32_e32 v2, v8
	v_add_co_u32 v3, vcc_lo, v43, v3
	v_lshlrev_b64_e32 v[5:6], 3, v[5:6]
	v_mov_b32_e32 v10, v1
	s_wait_alu 0xfffd
	v_add_co_ci_u32_e32 v4, vcc_lo, v44, v4, vcc_lo
	v_mov_b32_e32 v1, v12
	v_mad_co_u64_u32 v[13:14], null, s9, v13, v[2:3]
	v_add_co_u32 v14, vcc_lo, v43, v5
	s_wait_alu 0xfffd
	v_add_co_ci_u32_e32 v15, vcc_lo, v44, v6, vcc_lo
	v_mad_co_u64_u32 v[1:2], null, s9, v51, v[1:2]
	s_delay_alu instid0(VALU_DEP_4) | instskip(SKIP_3) | instid1(VALU_DEP_4)
	v_dual_mov_b32 v8, v13 :: v_dual_add_nc_u32 v13, 35, v106
	v_lshlrev_b64_e32 v[5:6], 3, v[9:10]
	v_mad_co_u64_u32 v[18:19], null, s8, v21, 0
	v_add_nc_u32_e32 v23, 0x5b, v106
	v_mad_co_u64_u32 v[16:17], null, s8, v13, 0
	s_delay_alu instid0(VALU_DEP_4)
	v_add_co_u32 v9, vcc_lo, v43, v5
	s_wait_alu 0xfffd
	v_add_co_ci_u32_e32 v10, vcc_lo, v44, v6, vcc_lo
	v_lshlrev_b64_e32 v[5:6], 3, v[7:8]
	v_mov_b32_e32 v12, v1
	v_add_nc_u32_e32 v108, 14, v106
	v_add_nc_u32_e32 v30, 0x62, v106
	;; [unrolled: 1-line block ×3, first 2 shown]
	v_add_co_u32 v1, vcc_lo, v43, v5
	s_wait_alu 0xfffd
	v_add_co_ci_u32_e32 v2, vcc_lo, v44, v6, vcc_lo
	v_dual_mov_b32 v5, v17 :: v_dual_mov_b32 v6, v19
	v_lshlrev_b64_e32 v[11:12], 3, v[11:12]
	v_mad_co_u64_u32 v[39:40], null, s8, v45, 0
	s_delay_alu instid0(VALU_DEP_3) | instskip(NEXT) | instid1(VALU_DEP_1)
	v_mad_co_u64_u32 v[19:20], null, s9, v13, v[5:6]
	v_mov_b32_e32 v17, v19
	v_mad_co_u64_u32 v[20:21], null, s9, v21, v[6:7]
	v_mad_co_u64_u32 v[21:22], null, s8, v23, 0
	s_clause 0x3
	global_load_b64 v[5:6], v[3:4], off
	global_load_b64 v[3:4], v[14:15], off
	;; [unrolled: 1-line block ×4, first 2 shown]
	v_add_co_u32 v9, vcc_lo, v43, v11
	s_wait_alu 0xfffd
	v_add_co_ci_u32_e32 v10, vcc_lo, v44, v12, vcc_lo
	v_lshlrev_b64_e32 v[12:13], 3, v[16:17]
	v_mov_b32_e32 v11, v22
	s_delay_alu instid0(VALU_DEP_1) | instskip(NEXT) | instid1(VALU_DEP_1)
	v_mad_co_u64_u32 v[14:15], null, s9, v23, v[11:12]
	v_dual_mov_b32 v19, v20 :: v_dual_mov_b32 v22, v14
	s_delay_alu instid0(VALU_DEP_1) | instskip(SKIP_4) | instid1(VALU_DEP_4)
	v_lshlrev_b64_e32 v[15:16], 3, v[18:19]
	v_mad_co_u64_u32 v[17:18], null, s8, v108, 0
	v_add_co_u32 v19, vcc_lo, v43, v12
	s_wait_alu 0xfffd
	v_add_co_ci_u32_e32 v20, vcc_lo, v44, v13, vcc_lo
	v_add_co_u32 v13, vcc_lo, v43, v15
	s_delay_alu instid0(VALU_DEP_4)
	v_mov_b32_e32 v11, v18
	s_wait_alu 0xfffd
	v_add_co_ci_u32_e32 v14, vcc_lo, v44, v16, vcc_lo
	v_lshlrev_b64_e32 v[15:16], 3, v[21:22]
	v_mad_co_u64_u32 v[21:22], null, s8, v27, 0
	v_mad_co_u64_u32 v[11:12], null, s9, v108, v[11:12]
	v_add_nc_u32_e32 v29, 0x46, v106
	s_delay_alu instid0(VALU_DEP_4)
	v_add_co_u32 v23, vcc_lo, v43, v15
	s_wait_alu 0xfffd
	v_add_co_ci_u32_e32 v24, vcc_lo, v44, v16, vcc_lo
	v_mov_b32_e32 v12, v22
	v_mov_b32_e32 v18, v11
	v_mad_co_u64_u32 v[25:26], null, s8, v29, 0
	s_delay_alu instid0(VALU_DEP_3)
	v_mad_co_u64_u32 v[27:28], null, s9, v27, v[12:13]
	s_clause 0x3
	global_load_b64 v[11:12], v[9:10], off
	global_load_b64 v[9:10], v[19:20], off
	;; [unrolled: 1-line block ×4, first 2 shown]
	v_mad_co_u64_u32 v[23:24], null, s8, v30, 0
	v_dual_mov_b32 v19, v26 :: v_dual_add_nc_u32 v36, 21, v106
	v_lshlrev_b64_e32 v[17:18], 3, v[17:18]
	v_mov_b32_e32 v22, v27
	s_delay_alu instid0(VALU_DEP_3) | instskip(NEXT) | instid1(VALU_DEP_2)
	v_mad_co_u64_u32 v[19:20], null, s9, v29, v[19:20]
	v_lshlrev_b64_e32 v[20:21], 3, v[21:22]
	s_delay_alu instid0(VALU_DEP_4) | instskip(SKIP_2) | instid1(VALU_DEP_4)
	v_add_co_u32 v17, vcc_lo, v43, v17
	s_wait_alu 0xfffd
	v_add_co_ci_u32_e32 v18, vcc_lo, v44, v18, vcc_lo
	v_dual_mov_b32 v26, v19 :: v_dual_mov_b32 v19, v24
	v_mad_co_u64_u32 v[27:28], null, s8, v36, 0
	s_delay_alu instid0(VALU_DEP_2) | instskip(SKIP_4) | instid1(VALU_DEP_4)
	v_mad_co_u64_u32 v[29:30], null, s9, v30, v[19:20]
	v_mad_co_u64_u32 v[30:31], null, s8, v32, 0
	v_add_co_u32 v19, vcc_lo, v43, v20
	s_wait_alu 0xfffd
	v_add_co_ci_u32_e32 v20, vcc_lo, v44, v21, vcc_lo
	v_dual_mov_b32 v21, v28 :: v_dual_mov_b32 v24, v29
	v_add_nc_u32_e32 v29, 0x4d, v106
	v_lshlrev_b64_e32 v[25:26], 3, v[25:26]
	s_delay_alu instid0(VALU_DEP_3) | instskip(NEXT) | instid1(VALU_DEP_3)
	v_mad_co_u64_u32 v[21:22], null, s9, v36, v[21:22]
	v_mad_co_u64_u32 v[37:38], null, s8, v29, 0
	v_mov_b32_e32 v22, v31
	s_delay_alu instid0(VALU_DEP_4) | instskip(SKIP_2) | instid1(VALU_DEP_3)
	v_add_co_u32 v41, vcc_lo, v43, v25
	s_wait_alu 0xfffd
	v_add_co_ci_u32_e32 v42, vcc_lo, v44, v26, vcc_lo
	v_mad_co_u64_u32 v[31:32], null, s9, v32, v[22:23]
	v_lshlrev_b64_e32 v[23:24], 3, v[23:24]
	v_mov_b32_e32 v22, v38
	v_mov_b32_e32 v28, v21
	s_delay_alu instid0(VALU_DEP_2) | instskip(SKIP_2) | instid1(VALU_DEP_4)
	v_mad_co_u64_u32 v[21:22], null, s9, v29, v[22:23]
	v_mov_b32_e32 v22, v40
	v_add_co_u32 v23, vcc_lo, v43, v23
	v_lshlrev_b64_e32 v[25:26], 3, v[27:28]
	s_wait_alu 0xfffd
	v_add_co_ci_u32_e32 v24, vcc_lo, v44, v24, vcc_lo
	s_delay_alu instid0(VALU_DEP_3)
	v_mad_co_u64_u32 v[27:28], null, s9, v45, v[22:23]
	v_mov_b32_e32 v38, v21
	v_lshlrev_b64_e32 v[28:29], 3, v[30:31]
	v_add_co_u32 v21, vcc_lo, v43, v25
	s_wait_alu 0xfffd
	v_add_co_ci_u32_e32 v22, vcc_lo, v44, v26, vcc_lo
	v_mov_b32_e32 v40, v27
	v_lshlrev_b64_e32 v[25:26], 3, v[37:38]
	v_add_co_u32 v37, vcc_lo, v43, v28
	s_wait_alu 0xfffd
	v_add_co_ci_u32_e32 v38, vcc_lo, v44, v29, vcc_lo
	v_lshlrev_b64_e32 v[27:28], 3, v[39:40]
	s_delay_alu instid0(VALU_DEP_4) | instskip(SKIP_2) | instid1(VALU_DEP_3)
	v_add_co_u32 v39, vcc_lo, v43, v25
	s_wait_alu 0xfffd
	v_add_co_ci_u32_e32 v40, vcc_lo, v44, v26, vcc_lo
	v_add_co_u32 v43, vcc_lo, v43, v27
	s_wait_alu 0xfffd
	v_add_co_ci_u32_e32 v44, vcc_lo, v44, v28, vcc_lo
	s_clause 0x7
	global_load_b64 v[27:28], v[17:18], off
	global_load_b64 v[25:26], v[19:20], off
	;; [unrolled: 1-line block ×8, first 2 shown]
	s_cbranch_execz .LBB0_5
	s_branch .LBB0_10
.LBB0_4:
                                        ; implicit-def: $vgpr1
                                        ; implicit-def: $vgpr23
                                        ; implicit-def: $vgpr21
                                        ; implicit-def: $vgpr17
                                        ; implicit-def: $vgpr19
                                        ; implicit-def: $vgpr29
                                        ; implicit-def: $vgpr31
                                        ; implicit-def: $vgpr25
                                        ; implicit-def: $vgpr27
                                        ; implicit-def: $vgpr13
                                        ; implicit-def: $vgpr15
                                        ; implicit-def: $vgpr9
                                        ; implicit-def: $vgpr11
                                        ; implicit-def: $vgpr7
                                        ; implicit-def: $vgpr3
                                        ; implicit-def: $vgpr5
                                        ; implicit-def: $vgpr51
                                        ; implicit-def: $vgpr108
                                        ; implicit-def: $vgpr36
	s_and_not1_b32 vcc_lo, exec_lo, s18
	s_cbranch_vccnz .LBB0_10
.LBB0_5:
	s_mov_b32 s2, exec_lo
                                        ; implicit-def: $vgpr51
                                        ; implicit-def: $vgpr108
                                        ; implicit-def: $vgpr36
	v_cmpx_le_u64_e64 s[10:11], v[49:50]
	s_wait_alu 0xfffe
	s_xor_b32 s2, exec_lo, s2
; %bb.6:
	v_add_nc_u32_e32 v51, 7, v106
	v_add_nc_u32_e32 v108, 14, v106
	v_add_nc_u32_e32 v36, 21, v106
                                        ; implicit-def: $vgpr33
                                        ; implicit-def: $vgpr34
                                        ; implicit-def: $vgpr35
; %bb.7:
	s_wait_alu 0xfffe
	s_or_saveexec_b32 s2, s2
                                        ; implicit-def: $vgpr1
                                        ; implicit-def: $vgpr23
                                        ; implicit-def: $vgpr21
                                        ; implicit-def: $vgpr17
                                        ; implicit-def: $vgpr19
                                        ; implicit-def: $vgpr29
                                        ; implicit-def: $vgpr31
                                        ; implicit-def: $vgpr25
                                        ; implicit-def: $vgpr27
                                        ; implicit-def: $vgpr13
                                        ; implicit-def: $vgpr15
                                        ; implicit-def: $vgpr9
                                        ; implicit-def: $vgpr11
                                        ; implicit-def: $vgpr7
                                        ; implicit-def: $vgpr3
                                        ; implicit-def: $vgpr5
	s_wait_alu 0xfffe
	s_xor_b32 exec_lo, exec_lo, s2
	s_cbranch_execz .LBB0_9
; %bb.8:
	s_wait_loadcnt 0xc
	v_mad_co_u64_u32 v[1:2], null, s4, v107, 0
	v_mad_co_u64_u32 v[3:4], null, s8, v106, 0
	s_lshl_b64 s[16:17], s[6:7], 3
	s_wait_loadcnt 0x7
	v_add_nc_u32_e32 v27, 0x46, v106
	s_wait_alu 0xfffe
	s_add_nc_u64 s[16:17], s[12:13], s[16:17]
	s_wait_loadcnt 0x4
	v_add_nc_u32_e32 v29, 0x62, v106
	v_add_nc_u32_e32 v39, 0x4d, v106
	v_mov_b32_e32 v51, v33
	v_mad_co_u64_u32 v[5:6], null, s5, v107, v[2:3]
	v_add_nc_u32_e32 v13, 28, v106
	s_delay_alu instid0(VALU_DEP_4)
	v_mad_co_u64_u32 v[31:32], null, s8, v39, 0
	s_wait_loadcnt 0x1
	v_add_nc_u32_e32 v22, 63, v106
	s_wait_loadcnt 0x0
	v_add_nc_u32_e32 v23, 0x5b, v106
	v_dual_mov_b32 v2, v5 :: v_dual_add_nc_u32 v25, 42, v106
	v_mad_co_u64_u32 v[8:9], null, s9, v106, v[4:5]
	v_add_nc_u32_e32 v15, 56, v106
	v_mad_co_u64_u32 v[6:7], null, s8, v13, 0
	v_add_nc_u32_e32 v16, 0x54, v106
	v_lshlrev_b64_e32 v[1:2], 3, v[1:2]
	v_add_nc_u32_e32 v36, 49, v106
	v_mov_b32_e32 v4, v8
	v_mad_co_u64_u32 v[9:10], null, s8, v15, 0
	v_mov_b32_e32 v5, v7
	v_mad_co_u64_u32 v[11:12], null, s8, v16, 0
	s_delay_alu instid0(VALU_DEP_4)
	v_lshlrev_b64_e32 v[3:4], 3, v[3:4]
	s_wait_alu 0xfffe
	v_add_co_u32 v46, vcc_lo, s16, v1
	v_mov_b32_e32 v7, v10
	v_mad_co_u64_u32 v[13:14], null, s9, v13, v[5:6]
	s_wait_alu 0xfffd
	v_add_co_ci_u32_e32 v47, vcc_lo, s17, v2, vcc_lo
	s_delay_alu instid0(VALU_DEP_3)
	v_mad_co_u64_u32 v[1:2], null, s9, v15, v[7:8]
	v_mov_b32_e32 v2, v12
	v_add_co_u32 v3, vcc_lo, v46, v3
	v_mov_b32_e32 v7, v13
	v_mad_co_u64_u32 v[13:14], null, s8, v33, 0
	v_mov_b32_e32 v10, v1
	s_delay_alu instid0(VALU_DEP_4) | instskip(NEXT) | instid1(VALU_DEP_4)
	v_mad_co_u64_u32 v[1:2], null, s9, v16, v[2:3]
	v_lshlrev_b64_e32 v[5:6], 3, v[6:7]
	v_add_nc_u32_e32 v19, 35, v106
	s_wait_alu 0xfffd
	v_add_co_ci_u32_e32 v4, vcc_lo, v47, v4, vcc_lo
	v_add_nc_u32_e32 v42, 0x69, v106
	v_mov_b32_e32 v108, v34
	v_mov_b32_e32 v12, v1
	v_add_co_u32 v7, vcc_lo, v46, v5
	s_wait_alu 0xfffd
	v_add_co_ci_u32_e32 v8, vcc_lo, v47, v6, vcc_lo
	v_lshlrev_b64_e32 v[5:6], 3, v[9:10]
	v_mad_co_u64_u32 v[9:10], null, s8, v19, 0
	v_mov_b32_e32 v1, v14
	s_delay_alu instid0(VALU_DEP_3) | instskip(NEXT) | instid1(VALU_DEP_2)
	v_add_co_u32 v15, vcc_lo, v46, v5
	v_mad_co_u64_u32 v[1:2], null, s9, v33, v[1:2]
	s_delay_alu instid0(VALU_DEP_4)
	v_mov_b32_e32 v2, v10
	s_wait_alu 0xfffd
	v_add_co_ci_u32_e32 v16, vcc_lo, v47, v6, vcc_lo
	v_lshlrev_b64_e32 v[5:6], 3, v[11:12]
	v_mad_co_u64_u32 v[11:12], null, s8, v22, 0
	v_mad_co_u64_u32 v[19:20], null, s9, v19, v[2:3]
	v_mad_co_u64_u32 v[20:21], null, s8, v23, 0
	v_mov_b32_e32 v14, v1
	v_add_co_u32 v17, vcc_lo, v46, v5
	v_mov_b32_e32 v10, v12
	s_wait_alu 0xfffd
	v_add_co_ci_u32_e32 v18, vcc_lo, v47, v6, vcc_lo
	v_lshlrev_b64_e32 v[12:13], 3, v[13:14]
	s_clause 0x3
	global_load_b64 v[5:6], v[3:4], off
	global_load_b64 v[3:4], v[7:8], off
	;; [unrolled: 1-line block ×4, first 2 shown]
	v_mad_co_u64_u32 v[14:15], null, s9, v22, v[10:11]
	v_mov_b32_e32 v15, v21
	v_add_co_u32 v16, vcc_lo, v46, v12
	s_wait_alu 0xfffd
	v_add_co_ci_u32_e32 v17, vcc_lo, v47, v13, vcc_lo
	s_delay_alu instid0(VALU_DEP_4) | instskip(NEXT) | instid1(VALU_DEP_3)
	v_mov_b32_e32 v12, v14
	v_mad_co_u64_u32 v[13:14], null, s9, v23, v[15:16]
	v_mov_b32_e32 v10, v19
	v_mad_co_u64_u32 v[18:19], null, s8, v34, 0
	v_mad_co_u64_u32 v[22:23], null, s8, v25, 0
	s_delay_alu instid0(VALU_DEP_4) | instskip(NEXT) | instid1(VALU_DEP_4)
	v_mov_b32_e32 v21, v13
	v_lshlrev_b64_e32 v[9:10], 3, v[9:10]
	s_delay_alu instid0(VALU_DEP_4) | instskip(SKIP_1) | instid1(VALU_DEP_3)
	v_mov_b32_e32 v13, v19
	v_lshlrev_b64_e32 v[11:12], 3, v[11:12]
	v_add_co_u32 v9, vcc_lo, v46, v9
	s_wait_alu 0xfffd
	s_delay_alu instid0(VALU_DEP_4) | instskip(NEXT) | instid1(VALU_DEP_3)
	v_add_co_ci_u32_e32 v10, vcc_lo, v47, v10, vcc_lo
	v_add_co_u32 v14, vcc_lo, v46, v11
	s_wait_alu 0xfffd
	v_add_co_ci_u32_e32 v15, vcc_lo, v47, v12, vcc_lo
	v_lshlrev_b64_e32 v[11:12], 3, v[20:21]
	s_delay_alu instid0(VALU_DEP_3) | instskip(SKIP_2) | instid1(VALU_DEP_4)
	v_mad_co_u64_u32 v[19:20], null, s9, v34, v[13:14]
	v_mad_co_u64_u32 v[20:21], null, s8, v27, 0
	v_mov_b32_e32 v13, v23
	v_add_co_u32 v23, vcc_lo, v46, v11
	s_wait_alu 0xfffd
	v_add_co_ci_u32_e32 v24, vcc_lo, v47, v12, vcc_lo
	s_delay_alu instid0(VALU_DEP_3)
	v_mad_co_u64_u32 v[25:26], null, s9, v25, v[13:14]
	v_mad_co_u64_u32 v[26:27], null, s9, v27, v[21:22]
	;; [unrolled: 1-line block ×3, first 2 shown]
	s_clause 0x3
	global_load_b64 v[11:12], v[16:17], off
	global_load_b64 v[9:10], v[9:10], off
	;; [unrolled: 1-line block ×4, first 2 shown]
	v_lshlrev_b64_e32 v[17:18], 3, v[18:19]
	v_mov_b32_e32 v23, v25
	v_mad_co_u64_u32 v[24:25], null, s8, v35, 0
	v_mov_b32_e32 v21, v26
	v_mov_b32_e32 v19, v28
	s_delay_alu instid0(VALU_DEP_4)
	v_lshlrev_b64_e32 v[22:23], 3, v[22:23]
	v_add_co_u32 v17, vcc_lo, v46, v17
	s_wait_alu 0xfffd
	v_add_co_ci_u32_e32 v18, vcc_lo, v47, v18, vcc_lo
	v_mad_co_u64_u32 v[28:29], null, s9, v29, v[19:20]
	v_mad_co_u64_u32 v[29:30], null, s8, v36, 0
	v_lshlrev_b64_e32 v[20:21], 3, v[20:21]
	v_mov_b32_e32 v19, v25
	v_add_co_u32 v22, vcc_lo, v46, v22
	s_wait_alu 0xfffd
	v_add_co_ci_u32_e32 v23, vcc_lo, v47, v23, vcc_lo
	s_delay_alu instid0(VALU_DEP_3) | instskip(SKIP_2) | instid1(VALU_DEP_2)
	v_mad_co_u64_u32 v[25:26], null, s9, v35, v[19:20]
	v_mov_b32_e32 v19, v30
	v_lshlrev_b64_e32 v[26:27], 3, v[27:28]
	v_mad_co_u64_u32 v[36:37], null, s9, v36, v[19:20]
	v_mad_co_u64_u32 v[37:38], null, s8, v42, 0
	v_add_co_u32 v19, vcc_lo, v46, v20
	s_wait_alu 0xfffd
	v_add_co_ci_u32_e32 v20, vcc_lo, v47, v21, vcc_lo
	s_delay_alu instid0(VALU_DEP_4) | instskip(SKIP_1) | instid1(VALU_DEP_2)
	v_dual_mov_b32 v21, v32 :: v_dual_mov_b32 v30, v36
	v_lshlrev_b64_e32 v[24:25], 3, v[24:25]
	v_mad_co_u64_u32 v[39:40], null, s9, v39, v[21:22]
	v_mov_b32_e32 v21, v38
	v_add_co_u32 v40, vcc_lo, v46, v26
	s_wait_alu 0xfffd
	v_add_co_ci_u32_e32 v41, vcc_lo, v47, v27, vcc_lo
	s_delay_alu instid0(VALU_DEP_3)
	v_mad_co_u64_u32 v[26:27], null, s9, v42, v[21:22]
	v_mov_b32_e32 v32, v39
	v_lshlrev_b64_e32 v[27:28], 3, v[29:30]
	v_add_co_u32 v42, vcc_lo, v46, v24
	s_wait_alu 0xfffd
	v_add_co_ci_u32_e32 v43, vcc_lo, v47, v25, vcc_lo
	v_mov_b32_e32 v38, v26
	v_lshlrev_b64_e32 v[24:25], 3, v[31:32]
	v_add_co_u32 v44, vcc_lo, v46, v27
	s_wait_alu 0xfffd
	v_add_co_ci_u32_e32 v45, vcc_lo, v47, v28, vcc_lo
	v_lshlrev_b64_e32 v[26:27], 3, v[37:38]
	s_delay_alu instid0(VALU_DEP_4) | instskip(SKIP_2) | instid1(VALU_DEP_3)
	v_add_co_u32 v36, vcc_lo, v46, v24
	s_wait_alu 0xfffd
	v_add_co_ci_u32_e32 v37, vcc_lo, v47, v25, vcc_lo
	v_add_co_u32 v38, vcc_lo, v46, v26
	s_wait_alu 0xfffd
	v_add_co_ci_u32_e32 v39, vcc_lo, v47, v27, vcc_lo
	s_clause 0x7
	global_load_b64 v[27:28], v[17:18], off
	global_load_b64 v[25:26], v[22:23], off
	global_load_b64 v[31:32], v[19:20], off
	global_load_b64 v[29:30], v[40:41], off
	global_load_b64 v[19:20], v[42:43], off
	global_load_b64 v[17:18], v[44:45], off
	global_load_b64 v[21:22], v[36:37], off
	global_load_b64 v[23:24], v[38:39], off
	v_mov_b32_e32 v36, v35
.LBB0_9:
	s_or_b32 exec_lo, exec_lo, s2
.LBB0_10:
	s_wait_loadcnt 0xd
	v_dual_sub_f32 v33, v5, v7 :: v_dual_sub_f32 v34, v6, v8
	s_wait_loadcnt 0xc
	v_dual_sub_f32 v7, v3, v1 :: v_dual_sub_f32 v8, v4, v2
	;; [unrolled: 2-line block ×3, first 2 shown]
	v_fma_f32 v5, v5, 2.0, -v33
	s_delay_alu instid0(VALU_DEP_3)
	v_fma_f32 v1, v3, 2.0, -v7
	v_fma_f32 v35, v6, 2.0, -v34
	;; [unrolled: 1-line block ×3, first 2 shown]
	s_wait_loadcnt 0x8
	v_dual_sub_f32 v37, v9, v13 :: v_dual_add_f32 v6, v34, v7
	v_sub_f32_e32 v1, v5, v1
	s_wait_loadcnt 0x5
	v_dual_sub_f32 v31, v27, v31 :: v_dual_sub_f32 v32, v28, v32
	v_sub_f32_e32 v2, v35, v2
	s_wait_loadcnt 0x4
	v_sub_f32_e32 v30, v26, v30
	v_fma_f32 v3, v5, 2.0, -v1
	v_sub_f32_e32 v5, v33, v8
	v_fma_f32 v12, v12, 2.0, -v16
	;; [unrolled: 2-line block ×3, first 2 shown]
	v_fma_f32 v4, v9, 2.0, -v37
	v_fma_f32 v28, v28, 2.0, -v32
	v_fma_f32 v26, v26, 2.0, -v30
	v_sub_f32_e32 v29, v25, v29
	v_fma_f32 v9, v10, 2.0, -v13
	v_dual_sub_f32 v7, v11, v4 :: v_dual_add_f32 v14, v16, v37
	v_fma_f32 v4, v35, 2.0, -v2
	v_fma_f32 v27, v27, 2.0, -v31
	v_sub_f32_e32 v26, v28, v26
	v_fma_f32 v25, v25, 2.0, -v29
	s_wait_loadcnt 0x1
	v_sub_f32_e32 v35, v20, v22
	s_wait_loadcnt 0x0
	v_dual_sub_f32 v37, v18, v24 :: v_dual_add_f32 v24, v32, v29
	v_sub_f32_e32 v8, v12, v9
	v_fma_f32 v9, v33, 2.0, -v5
	v_sub_f32_e32 v33, v19, v21
	v_fma_f32 v10, v34, 2.0, -v6
	v_dual_sub_f32 v13, v15, v13 :: v_dual_sub_f32 v34, v17, v23
	v_fma_f32 v38, v20, 2.0, -v35
	v_fma_f32 v18, v18, 2.0, -v37
	v_sub_f32_e32 v25, v27, v25
	v_sub_f32_e32 v23, v31, v30
	v_fma_f32 v20, v32, 2.0, -v24
	v_dual_sub_f32 v29, v33, v37 :: v_dual_add_f32 v30, v35, v34
	v_mul_u32_u24_e32 v32, 0x260, v106
	v_lshlrev_b32_e32 v37, 3, v107
	v_fma_f32 v17, v17, 2.0, -v34
	v_sub_f32_e32 v18, v38, v18
	v_fma_f32 v21, v27, 2.0, -v25
	v_fma_f32 v27, v19, 2.0, -v33
	;; [unrolled: 1-line block ×3, first 2 shown]
	v_mul_i32_i24_e32 v34, 0x260, v51
	v_fma_f32 v31, v33, 2.0, -v29
	v_add3_u32 v33, 0, v32, v37
	v_fma_f32 v32, v35, 2.0, -v30
	v_mul_i32_i24_e32 v35, 0x260, v108
	v_sub_f32_e32 v17, v27, v17
	v_fma_f32 v22, v28, 2.0, -v26
	v_fma_f32 v28, v38, 2.0, -v18
	v_mul_i32_i24_e32 v38, 0x260, v36
	v_fma_f32 v11, v11, 2.0, -v7
	v_fma_f32 v12, v12, 2.0, -v8
	;; [unrolled: 1-line block ×4, first 2 shown]
	v_add3_u32 v34, 0, v34, v37
	ds_store_2addr_b64 v33, v[3:4], v[9:10] offset1:19
	ds_store_2addr_b64 v33, v[1:2], v[5:6] offset0:38 offset1:57
	v_and_b32_e32 v3, 3, v106
	v_add3_u32 v1, 0, v35, v37
	v_fma_f32 v27, v27, 2.0, -v17
	v_add3_u32 v2, 0, v38, v37
	ds_store_2addr_b64 v34, v[11:12], v[15:16] offset1:19
	ds_store_2addr_b64 v34, v[7:8], v[13:14] offset0:38 offset1:57
	ds_store_2addr_b64 v1, v[21:22], v[19:20] offset1:19
	ds_store_2addr_b64 v1, v[25:26], v[23:24] offset0:38 offset1:57
	ds_store_2addr_b64 v2, v[27:28], v[31:32] offset1:19
	v_mul_u32_u24_e32 v1, 3, v3
	v_lshlrev_b32_e32 v28, 2, v108
	ds_store_2addr_b64 v2, v[17:18], v[29:30] offset0:38 offset1:57
	global_wb scope:SCOPE_SE
	s_wait_dscnt 0x0
	s_barrier_signal -1
	v_lshlrev_b32_e32 v5, 3, v1
	s_barrier_wait -1
	global_inv scope:SCOPE_SE
	v_and_b32_e32 v18, 3, v36
	v_lshl_or_b32 v24, v106, 2, v106
	global_load_b128 v[1:4], v5, s[14:15]
	v_and_b32_e32 v19, 3, v51
	v_mul_i32_i24_e32 v21, 0x98, v51
	v_mul_u32_u24_e32 v14, 3, v18
	v_mul_i32_i24_e32 v23, 0x98, v36
	v_mul_i32_i24_e32 v22, 0x98, v108
	v_mul_u32_u24_e32 v6, 3, v19
	v_cmp_gt_u32_e64 s2, 38, v0
	v_lshlrev_b32_e32 v20, 3, v14
	s_mov_b32 s16, 0
	s_delay_alu instid0(VALU_DEP_3)
	v_lshlrev_b32_e32 v9, 3, v6
	s_clause 0x1
	global_load_b64 v[43:44], v5, s[14:15] offset:16
	global_load_b128 v[5:8], v9, s[14:15]
	v_and_b32_e32 v17, 3, v108
	v_lshlrev_b32_e32 v27, 2, v51
	s_delay_alu instid0(VALU_DEP_2) | instskip(NEXT) | instid1(VALU_DEP_2)
	v_mul_u32_u24_e32 v10, 3, v17
	v_and_or_b32 v19, 0x7ff0, v27, v19
	v_and_or_b32 v17, 0x7ff0, v28, v17
	s_delay_alu instid0(VALU_DEP_3)
	v_lshlrev_b32_e32 v13, 3, v10
	s_clause 0x4
	global_load_b64 v[45:46], v9, s[14:15] offset:16
	global_load_b128 v[9:12], v13, s[14:15]
	global_load_b64 v[47:48], v13, s[14:15] offset:16
	global_load_b128 v[13:16], v20, s[14:15]
	global_load_b64 v[52:53], v20, s[14:15] offset:16
	v_mul_u32_u24_e32 v20, 0x98, v106
	v_lshlrev_b32_e32 v29, 2, v36
	v_mul_u32_u24_e32 v33, 0x98, v19
	v_mul_u32_u24_e32 v34, 0x98, v17
	s_delay_alu instid0(VALU_DEP_4) | instskip(NEXT) | instid1(VALU_DEP_4)
	v_add3_u32 v25, 0, v20, v37
	v_and_or_b32 v18, 0x7ff0, v29, v18
	v_and_b32_e32 v20, 51, v24
	s_delay_alu instid0(VALU_DEP_3) | instskip(NEXT) | instid1(VALU_DEP_3)
	v_add_nc_u32_e32 v27, 0x3000, v25
	v_mul_u32_u24_e32 v38, 0x98, v18
	s_delay_alu instid0(VALU_DEP_3)
	v_mul_u32_u24_e32 v32, 0x98, v20
	v_add_nc_u32_e32 v31, 0x1800, v25
	ds_load_2addr_b64 v[27:30], v27 offset0:60 offset1:193
	v_add_nc_u32_e32 v63, 0x1000, v25
	s_wait_loadcnt_dscnt 0x600
	v_dual_mul_f32 v75, v44, v28 :: v_dual_add_nc_u32 v64, 0x3800, v25
	v_mul_f32_e32 v44, v44, v27
	s_wait_loadcnt 0x4
	v_mul_f32_e32 v78, v30, v46
	v_mul_f32_e32 v46, v29, v46
	ds_load_2addr_b64 v[17:20], v63 offset0:20 offset1:153
	s_wait_dscnt 0x0
	v_dual_mul_f32 v73, v2, v18 :: v_dual_add_nc_u32 v36, 0x2800, v25
	v_mul_f32_e32 v2, v2, v17
	v_add3_u32 v62, 0, v21, v37
	v_add_nc_u32_e32 v21, 0x2000, v25
	v_add3_u32 v35, 0, v23, v37
	v_add3_u32 v26, 0, v22, v37
	;; [unrolled: 1-line block ×4, first 2 shown]
	ds_load_2addr_b64 v[21:24], v21 offset0:40 offset1:173
	v_add3_u32 v71, 0, v34, v37
	v_add3_u32 v72, 0, v38, v37
	ds_load_b64 v[54:55], v25
	ds_load_2addr_b64 v[31:34], v31 offset0:30 offset1:163
	ds_load_b64 v[56:57], v35
	ds_load_b64 v[58:59], v62
	;; [unrolled: 1-line block ×3, first 2 shown]
	ds_load_2addr_b64 v[35:38], v36 offset0:50 offset1:183
	ds_load_2addr_b64 v[39:42], v64 offset0:70 offset1:203
	v_add_nc_u32_e32 v66, 0x1c00, v25
	v_add_nc_u32_e32 v68, 0x2c00, v25
	v_mul_f32_e32 v76, v20, v6
	v_dual_mul_f32 v6, v19, v6 :: v_dual_add_nc_u32 v65, 0x800, v25
	v_add_nc_u32_e32 v67, 0x2400, v25
	v_fma_f32 v17, v1, v17, -v73
	v_fmac_f32_e32 v2, v1, v18
	v_fmac_f32_e32 v46, v30, v45
	global_wb scope:SCOPE_SE
	s_wait_loadcnt_dscnt 0x0
	s_barrier_signal -1
	s_barrier_wait -1
	global_inv scope:SCOPE_SE
	v_mul_f32_e32 v79, v32, v10
	v_mul_f32_e32 v10, v31, v10
	;; [unrolled: 1-line block ×7, first 2 shown]
	v_dual_mul_f32 v81, v40, v48 :: v_dual_mul_f32 v84, v42, v53
	v_dual_mul_f32 v53, v41, v53 :: v_dual_fmac_f32 v4, v3, v22
	v_mul_f32_e32 v12, v35, v12
	v_mul_f32_e32 v48, v39, v48
	;; [unrolled: 1-line block ×3, first 2 shown]
	v_dual_mul_f32 v14, v33, v14 :: v_dual_mul_f32 v83, v38, v16
	v_fma_f32 v1, v3, v21, -v74
	v_mul_f32_e32 v16, v37, v16
	v_fma_f32 v3, v19, v5, -v76
	v_dual_fmac_f32 v6, v20, v5 :: v_dual_fmac_f32 v53, v42, v52
	v_fma_f32 v5, v43, v27, -v75
	v_fmac_f32_e32 v44, v43, v28
	v_fma_f32 v18, v23, v7, -v77
	v_fmac_f32_e32 v8, v24, v7
	v_fma_f32 v7, v29, v45, -v78
	v_fma_f32 v19, v31, v9, -v79
	v_fmac_f32_e32 v10, v32, v9
	v_fma_f32 v9, v35, v11, -v80
	v_fmac_f32_e32 v48, v40, v47
	v_fma_f32 v20, v33, v13, -v82
	v_dual_sub_f32 v21, v54, v1 :: v_dual_sub_f32 v22, v55, v4
	s_delay_alu instid0(VALU_DEP_4)
	v_sub_f32_e32 v24, v60, v9
	v_sub_f32_e32 v18, v58, v18
	v_dual_sub_f32 v4, v17, v5 :: v_dual_sub_f32 v5, v3, v7
	v_dual_fmac_f32 v12, v36, v11 :: v_dual_sub_f32 v9, v10, v48
	v_fma_f32 v11, v39, v47, -v81
	v_sub_f32_e32 v7, v6, v46
	v_sub_f32_e32 v1, v2, v44
	v_fmac_f32_e32 v16, v38, v15
	v_fmac_f32_e32 v14, v34, v13
	v_fma_f32 v13, v37, v15, -v83
	v_fma_f32 v15, v41, v52, -v84
	v_sub_f32_e32 v23, v59, v8
	v_fma_f32 v30, v54, 2.0, -v21
	v_dual_sub_f32 v8, v19, v11 :: v_dual_sub_f32 v27, v61, v12
	s_delay_alu instid0(VALU_DEP_4)
	v_sub_f32_e32 v11, v20, v15
	v_fma_f32 v15, v2, 2.0, -v1
	v_sub_f32_e32 v1, v21, v1
	v_sub_f32_e32 v29, v57, v16
	v_fma_f32 v31, v55, 2.0, -v22
	v_fma_f32 v16, v3, 2.0, -v5
	v_sub_f32_e32 v3, v18, v7
	s_delay_alu instid0(VALU_DEP_4)
	v_dual_add_f32 v2, v22, v4 :: v_dual_add_f32 v55, v29, v11
	v_fma_f32 v34, v60, 2.0, -v24
	v_sub_f32_e32 v28, v56, v13
	v_fma_f32 v13, v17, 2.0, -v4
	v_fma_f32 v17, v6, 2.0, -v7
	;; [unrolled: 1-line block ×3, first 2 shown]
	v_add_f32_e32 v4, v23, v5
	v_sub_f32_e32 v5, v24, v9
	v_fma_f32 v32, v58, 2.0, -v18
	v_sub_f32_e32 v12, v14, v53
	v_sub_f32_e32 v7, v30, v13
	v_fma_f32 v19, v19, 2.0, -v8
	v_fma_f32 v33, v59, 2.0, -v23
	v_fma_f32 v35, v61, 2.0, -v27
	v_fma_f32 v36, v10, 2.0, -v9
	v_add_f32_e32 v6, v27, v8
	v_fma_f32 v20, v20, 2.0, -v11
	v_sub_f32_e32 v11, v32, v16
	v_fma_f32 v39, v14, 2.0, -v12
	v_sub_f32_e32 v8, v31, v15
	v_sub_f32_e32 v15, v34, v19
	v_fma_f32 v37, v56, 2.0, -v28
	v_sub_f32_e32 v54, v28, v12
	v_sub_f32_e32 v12, v33, v17
	v_dual_sub_f32 v16, v35, v36 :: v_dual_sub_f32 v53, v38, v39
	s_delay_alu instid0(VALU_DEP_4)
	v_sub_f32_e32 v52, v37, v20
	v_fma_f32 v9, v21, 2.0, -v1
	v_fma_f32 v10, v22, 2.0, -v2
	;; [unrolled: 1-line block ×16, first 2 shown]
	ds_store_2addr_b64 v69, v[7:8], v[1:2] offset0:152 offset1:228
	ds_store_2addr_b64 v69, v[21:22], v[9:10] offset1:76
	ds_store_2addr_b64 v70, v[23:24], v[13:14] offset1:76
	ds_store_2addr_b64 v70, v[11:12], v[3:4] offset0:152 offset1:228
	ds_store_2addr_b64 v71, v[27:28], v[17:18] offset1:76
	ds_store_2addr_b64 v71, v[15:16], v[5:6] offset0:152 offset1:228
	;; [unrolled: 2-line block ×3, first 2 shown]
	global_wb scope:SCOPE_SE
	s_wait_dscnt 0x0
	s_barrier_signal -1
	s_barrier_wait -1
	global_inv scope:SCOPE_SE
	ds_load_2addr_b64 v[21:24], v65 offset0:48 offset1:181
	ds_load_2addr_b64 v[17:20], v63 offset0:96 offset1:229
	;; [unrolled: 1-line block ×6, first 2 shown]
	ds_load_b64 v[68:69], v25
	ds_load_b64 v[66:67], v62
                                        ; implicit-def: $vgpr63
                                        ; implicit-def: $vgpr57
                                        ; implicit-def: $vgpr61
                                        ; implicit-def: $vgpr59
                                        ; implicit-def: $vgpr65
	s_and_saveexec_b32 s17, s2
	s_cbranch_execz .LBB0_12
; %bb.11:
	ds_load_b64 v[54:55], v25 offset:4560
	ds_load_b64 v[62:63], v25 offset:6992
	;; [unrolled: 1-line block ×5, first 2 shown]
	ds_load_b64 v[52:53], v26
	ds_load_b64 v[60:61], v25 offset:16720
.LBB0_12:
	s_wait_alu 0xfffe
	s_or_b32 exec_lo, exec_lo, s17
	v_mul_u32_u24_e32 v25, 6, v106
	v_and_b32_e32 v127, 15, v108
	v_or_b32_e32 v109, 0x50, v106
	v_mul_lo_u32 v70, v49, v106
	v_or_b32_e32 v112, 16, v106
	v_lshlrev_b32_e32 v25, 3, v25
	v_or_b32_e32 v123, 48, v127
	v_mul_lo_u32 v87, v49, v109
	s_load_b64 s[0:1], s[0:1], 0x8
	v_mul_lo_u32 v71, v49, v112
	global_load_b128 v[45:48], v25, s[14:15] offset:96
	v_and_b32_e32 v0, 15, v51
	v_mul_lo_u32 v128, v49, v123
	v_and_b32_e32 v73, 0xff, v70
	v_lshrrev_b32_e32 v70, 5, v70
	v_or_b32_e32 v113, 32, v106
	v_or_b32_e32 v111, 48, v106
	;; [unrolled: 1-line block ×3, first 2 shown]
	v_lshrrev_b32_e32 v76, 5, v71
	v_or_b32_e32 v114, 64, v106
	v_mul_lo_u32 v72, v49, v113
	v_mul_lo_u32 v74, v49, v111
	;; [unrolled: 1-line block ×3, first 2 shown]
	s_and_not1_b32 vcc_lo, exec_lo, s3
	v_mul_lo_u32 v86, v49, v114
	s_delay_alu instid0(VALU_DEP_4) | instskip(NEXT) | instid1(VALU_DEP_4)
	v_lshrrev_b32_e32 v78, 5, v72
	v_lshrrev_b32_e32 v80, 5, v74
	s_wait_loadcnt_dscnt 0x6
	v_dual_mul_f32 v130, v48, v17 :: v_dual_mul_f32 v123, v46, v22
	v_mul_u32_u24_e32 v26, 6, v0
	v_or_b32_e32 v117, 64, v0
	v_or_b32_e32 v115, 32, v0
	v_dual_mul_f32 v129, v46, v21 :: v_dual_mul_f32 v46, v48, v18
	s_delay_alu instid0(VALU_DEP_4)
	v_lshlrev_b32_e32 v26, 3, v26
	v_or_b32_e32 v116, 48, v0
	v_or_b32_e32 v118, 0x50, v0
	s_clause 0x4
	global_load_b128 v[41:44], v26, s[14:15] offset:96
	global_load_b128 v[37:40], v25, s[14:15] offset:112
	;; [unrolled: 1-line block ×5, first 2 shown]
	v_and_b32_e32 v91, 0xff, v87
	v_and_b32_e32 v75, 0x7f8, v70
	v_dual_fmac_f32 v129, v45, v22 :: v_dual_and_b32 v70, 0xff, v71
	v_mul_lo_u32 v117, v49, v117
	v_mul_lo_u32 v89, v49, v0
	;; [unrolled: 1-line block ×5, first 2 shown]
	v_dual_fmac_f32 v130, v47, v18 :: v_dual_lshlrev_b32 v73, 3, v73
	v_and_b32_e32 v77, 0xff, v72
	v_and_b32_e32 v79, 0xff, v74
	v_lshlrev_b32_e32 v74, 3, v70
	v_fma_f32 v133, v47, v17, -v46
	v_and_b32_e32 v76, 0x7f8, v76
	v_and_b32_e32 v92, 0xff, v88
	v_fma_f32 v132, v45, v21, -v123
	v_and_b32_e32 v78, 0x7f8, v78
	v_and_b32_e32 v84, 0x7f8, v80
	v_lshrrev_b32_e32 v87, 5, v87
	v_lshrrev_b32_e32 v88, 5, v88
	v_lshrrev_b32_e32 v47, 5, v118
	s_wait_loadcnt_dscnt 0x304
	v_dual_mul_f32 v17, v42, v24 :: v_dual_mul_f32 v22, v40, v10
	v_dual_mul_f32 v40, v40, v9 :: v_dual_lshlrev_b32 v91, 3, v91
	v_mul_f32_e32 v134, v42, v23
	v_mul_f32_e32 v18, v44, v20
	;; [unrolled: 1-line block ×3, first 2 shown]
	v_fma_f32 v9, v39, v9, -v22
	v_fmac_f32_e32 v40, v39, v10
	v_mul_u32_u24_e32 v119, 6, v127
	s_wait_loadcnt 0x2
	v_mul_f32_e32 v10, v12, v36
	v_dual_mul_f32 v36, v11, v36 :: v_dual_and_b32 v39, 0xff, v117
	s_wait_loadcnt_dscnt 0x103
	v_dual_mul_f32 v44, v30, v6 :: v_dual_lshlrev_b32 v119, 3, v119
	s_wait_kmcnt 0x0
	s_clause 0x1
	global_load_b64 v[70:71], v73, s[0:1]
	global_load_b64 v[72:73], v75, s[0:1] offset:2048
	v_dual_fmac_f32 v134, v41, v24 :: v_dual_lshlrev_b32 v81, 3, v77
	v_dual_fmac_f32 v136, v43, v20 :: v_dual_and_b32 v93, 0xff, v89
	v_or_b32_e32 v122, 32, v127
	v_fma_f32 v135, v41, v23, -v17
	v_mul_f32_e32 v21, v38, v14
	v_fma_f32 v137, v43, v19, -v18
	v_fma_f32 v10, v11, v35, -v10
	v_and_b32_e32 v11, 0xff, v115
	v_fmac_f32_e32 v36, v12, v35
	v_lshrrev_b32_e32 v35, 5, v116
	v_lshrrev_b32_e32 v41, 5, v117
	v_dual_mul_f32 v30, v30, v5 :: v_dual_and_b32 v43, 0xff, v118
	v_fma_f32 v139, v29, v5, -v44
	s_wait_loadcnt 0x2
	v_mul_f32_e32 v5, v8, v26
	v_dual_mul_f32 v26, v7, v26 :: v_dual_lshlrev_b32 v79, 3, v79
	v_mul_f32_e32 v38, v38, v13
	s_clause 0x1
	global_load_b64 v[74:75], v74, s[0:1]
	global_load_b64 v[76:77], v76, s[0:1] offset:2048
	v_mul_lo_u32 v122, v49, v122
	v_fma_f32 v138, v37, v13, -v21
	v_mul_f32_e32 v13, v16, v34
	v_fma_f32 v141, v7, v25, -v5
	v_dual_fmac_f32 v26, v8, v25 :: v_dual_and_b32 v25, 0x7f8, v35
	v_and_b32_e32 v35, 0x7f8, v41
	s_wait_dscnt 0x2
	v_mul_f32_e32 v41, v4, v28
	v_mul_f32_e32 v28, v3, v28
	s_clause 0x3
	global_load_b64 v[80:81], v81, s[0:1]
	global_load_b64 v[82:83], v78, s[0:1] offset:2048
	global_load_b64 v[78:79], v79, s[0:1]
	global_load_b64 v[84:85], v84, s[0:1] offset:2048
	v_and_b32_e32 v90, 0xff, v86
	v_lshrrev_b32_e32 v86, 5, v86
	v_lshrrev_b32_e32 v89, 5, v89
	v_lshlrev_b32_e32 v92, 3, v92
	v_and_b32_e32 v5, 0xff, v122
	v_fma_f32 v144, v3, v27, -v41
	v_and_b32_e32 v86, 0x7f8, v86
	v_dual_fmac_f32 v38, v37, v14 :: v_dual_and_b32 v87, 0x7f8, v87
	v_and_b32_e32 v88, 0x7f8, v88
	v_dual_mul_f32 v34, v15, v34 :: v_dual_lshlrev_b32 v93, 3, v93
	v_and_b32_e32 v102, 0x7f8, v89
	v_dual_fmac_f32 v28, v4, v27 :: v_dual_lshlrev_b32 v143, 3, v5
	v_or_b32_e32 v120, 16, v127
	v_mul_lo_u32 v121, v49, v127
	v_fma_f32 v37, v15, v33, -v13
	v_lshrrev_b32_e32 v12, 5, v115
	v_dual_fmac_f32 v30, v29, v6 :: v_dual_lshlrev_b32 v7, 3, v11
	v_mul_lo_u32 v120, v49, v120
	v_or_b32_e32 v124, 64, v127
	v_lshrrev_b32_e32 v8, 5, v122
	v_and_b32_e32 v42, 0xff, v121
	v_lshrrev_b32_e32 v45, 5, v121
	v_dual_fmac_f32 v34, v16, v33 :: v_dual_and_b32 v33, 0xff, v116
	v_mul_lo_u32 v131, v49, v124
	v_lshrrev_b32_e32 v6, 5, v120
	s_delay_alu instid0(VALU_DEP_4) | instskip(SKIP_1) | instid1(VALU_DEP_1)
	v_and_b32_e32 v140, 0x7f8, v45
	v_dual_mul_f32 v46, v32, v2 :: v_dual_and_b32 v11, 0x7f8, v12
	v_fma_f32 v29, v31, v1, -v46
	s_wait_loadcnt 0x6
	v_dual_mul_f32 v3, v71, v73 :: v_dual_lshlrev_b32 v90, 3, v90
	s_clause 0x3
	global_load_b64 v[94:95], v90, s[0:1]
	global_load_b64 v[96:97], v86, s[0:1] offset:2048
	global_load_b64 v[98:99], v91, s[0:1]
	global_load_b64 v[100:101], v87, s[0:1] offset:2048
	s_wait_loadcnt 0x8
	v_dual_mul_f32 v4, v75, v77 :: v_dual_and_b32 v121, 0x7f8, v47
	s_wait_loadcnt 0x6
	v_mul_f32_e32 v27, v80, v83
	s_clause 0x3
	global_load_b64 v[86:87], v92, s[0:1]
	global_load_b64 v[90:91], v88, s[0:1] offset:2048
	global_load_b64 v[88:89], v93, s[0:1]
	global_load_b64 v[92:93], v102, s[0:1] offset:2048
	v_or_b32_e32 v102, 16, v0
	s_wait_loadcnt 0x8
	v_mul_f32_e32 v5, v79, v85
	v_or_b32_e32 v0, 0x60, v0
	v_lshlrev_b32_e32 v12, 3, v33
	v_lshlrev_b32_e32 v33, 3, v39
	v_mul_lo_u32 v102, v49, v102
	v_lshlrev_b32_e32 v39, 3, v43
	v_mul_lo_u32 v0, v49, v0
	v_dual_mul_f32 v32, v32, v1 :: v_dual_fmac_f32 v27, v81, v82
	v_and_b32_e32 v142, 0x7f8, v6
	v_and_b32_e32 v103, 0xff, v102
	v_lshrrev_b32_e32 v102, 5, v102
	s_delay_alu instid0(VALU_DEP_4) | instskip(SKIP_1) | instid1(VALU_DEP_4)
	v_dual_fmac_f32 v32, v31, v2 :: v_dual_and_b32 v1, 0xff, v0
	v_lshrrev_b32_e32 v0, 5, v0
	v_lshlrev_b32_e32 v103, 3, v103
	s_delay_alu instid0(VALU_DEP_4)
	v_and_b32_e32 v104, 0x7f8, v102
	s_clause 0x1
	global_load_b64 v[102:103], v103, s[0:1]
	global_load_b64 v[104:105], v104, s[0:1] offset:2048
	s_clause 0x2
	global_load_b128 v[17:20], v119, s[14:15] offset:128
	global_load_b128 v[13:16], v119, s[14:15] offset:112
	;; [unrolled: 1-line block ×3, first 2 shown]
	v_and_b32_e32 v2, 0xff, v120
	v_lshlrev_b32_e32 v31, 3, v42
	s_clause 0x1
	global_load_b64 v[41:42], v7, s[0:1]
	global_load_b64 v[43:44], v11, s[0:1] offset:2048
	v_mul_f32_e32 v11, v70, v73
	s_clause 0x3
	global_load_b64 v[45:46], v12, s[0:1]
	global_load_b64 v[47:48], v25, s[0:1] offset:2048
	global_load_b64 v[115:116], v33, s[0:1]
	global_load_b64 v[117:118], v35, s[0:1] offset:2048
	v_fma_f32 v12, v70, v72, -v3
	v_mul_f32_e32 v25, v74, v77
	v_mul_f32_e32 v70, v78, v85
	v_lshlrev_b32_e32 v1, 3, v1
	v_and_b32_e32 v0, 0x7f8, v0
	v_dual_fmac_f32 v11, v71, v72 :: v_dual_lshlrev_b32 v2, 3, v2
	v_mul_f32_e32 v3, v81, v83
	v_fma_f32 v33, v74, v76, -v4
	v_fmac_f32_e32 v25, v75, v76
	v_fmac_f32_e32 v70, v79, v84
	v_add_f32_e32 v72, v38, v40
	v_fma_f32 v35, v80, v82, -v3
	v_dual_sub_f32 v38, v40, v38 :: v_dual_add_f32 v75, v133, v139
	v_fma_f32 v71, v78, v84, -v5
	v_add_f32_e32 v74, v129, v32
	v_sub_f32_e32 v32, v129, v32
	v_sub_f32_e32 v79, v133, v139
	v_add_f32_e32 v81, v135, v144
	v_add_f32_e32 v85, v134, v28
	s_wait_loadcnt 0x11
	v_mul_f32_e32 v76, v94, v97
	s_clause 0x3
	global_load_b64 v[119:120], v39, s[0:1]
	global_load_b64 v[121:122], v121, s[0:1] offset:2048
	global_load_b64 v[123:124], v1, s[0:1]
	global_load_b64 v[125:126], v0, s[0:1] offset:2048
	v_mul_f32_e32 v39, v95, v97
	s_wait_loadcnt 0x13
	v_mul_f32_e32 v40, v99, v101
	v_mul_f32_e32 v80, v98, v101
	v_dual_fmac_f32 v76, v95, v96 :: v_dual_add_f32 v95, v136, v26
	v_fma_f32 v77, v94, v96, -v39
	s_delay_alu instid0(VALU_DEP_4)
	v_fma_f32 v83, v98, v100, -v40
	v_add_f32_e32 v40, v132, v29
	v_dual_fmac_f32 v80, v99, v100 :: v_dual_sub_f32 v29, v132, v29
	v_sub_f32_e32 v94, v137, v141
	s_wait_loadcnt 0x11
	v_dual_add_f32 v96, v37, v10 :: v_dual_mul_f32 v39, v87, v91
	s_wait_loadcnt 0xf
	v_dual_mul_f32 v82, v86, v91 :: v_dual_mul_f32 v91, v88, v93
	v_mul_f32_e32 v73, v89, v93
	s_clause 0x3
	global_load_b64 v[4:5], v31, s[0:1]
	global_load_b64 v[6:7], v140, s[0:1] offset:2048
	global_load_b64 v[0:1], v2, s[0:1]
	global_load_b64 v[2:3], v142, s[0:1] offset:2048
	v_add_f32_e32 v31, v138, v9
	v_sub_f32_e32 v9, v9, v138
	v_dual_add_f32 v78, v130, v30 :: v_dual_fmac_f32 v91, v89, v92
	v_sub_f32_e32 v30, v130, v30
	v_sub_f32_e32 v84, v135, v144
	;; [unrolled: 1-line block ×3, first 2 shown]
	v_fma_f32 v97, v86, v90, -v39
	v_fmac_f32_e32 v82, v87, v90
	v_fma_f32 v88, v88, v92, -v73
	v_add_f32_e32 v39, v75, v40
	v_dual_add_f32 v73, v78, v74 :: v_dual_sub_f32 v86, v75, v40
	v_sub_f32_e32 v99, v38, v30
	v_dual_sub_f32 v28, v134, v28 :: v_dual_sub_f32 v75, v31, v75
	v_add_f32_e32 v93, v137, v141
	v_sub_f32_e32 v87, v78, v74
	s_delay_alu instid0(VALU_DEP_4)
	v_dual_add_f32 v92, v38, v30 :: v_dual_mul_f32 v99, 0xbf08b237, v99
	s_wait_loadcnt 0x11
	v_mul_f32_e32 v89, v102, v105
	v_sub_f32_e32 v10, v10, v37
	v_dual_add_f32 v37, v34, v36 :: v_dual_sub_f32 v34, v36, v34
	v_mul_f32_e32 v36, v103, v105
	s_delay_alu instid0(VALU_DEP_4)
	v_fmac_f32_e32 v89, v103, v104
	v_dual_sub_f32 v103, v95, v85 :: v_dual_add_f32 v90, v9, v79
	v_sub_f32_e32 v40, v40, v31
	v_sub_f32_e32 v78, v72, v78
	v_sub_f32_e32 v98, v9, v79
	v_sub_f32_e32 v9, v29, v9
	v_dual_sub_f32 v79, v79, v29 :: v_dual_sub_f32 v74, v74, v72
	v_sub_f32_e32 v30, v30, v32
	v_fma_f32 v101, v102, v104, -v36
	v_dual_add_f32 v104, v10, v94 :: v_dual_add_f32 v31, v31, v39
	v_add_f32_e32 v39, v34, v26
	v_dual_sub_f32 v38, v32, v38 :: v_dual_add_f32 v29, v90, v29
	v_dual_add_f32 v72, v72, v73 :: v_dual_sub_f32 v73, v10, v94
	v_sub_f32_e32 v94, v94, v84
	v_add_f32_e32 v36, v95, v85
	v_sub_f32_e32 v85, v85, v37
	v_dual_sub_f32 v95, v37, v95 :: v_dual_mul_f32 v40, 0x3f4a47b2, v40
	v_sub_f32_e32 v102, v93, v81
	s_delay_alu instid0(VALU_DEP_4) | instskip(SKIP_3) | instid1(VALU_DEP_3)
	v_add_f32_e32 v105, v37, v36
	v_dual_add_f32 v100, v93, v81 :: v_dual_add_f32 v37, v104, v84
	v_dual_sub_f32 v81, v81, v96 :: v_dual_sub_f32 v10, v84, v10
	s_wait_dscnt 0x0
	v_dual_add_f32 v32, v92, v32 :: v_dual_add_f32 v67, v105, v67
	v_mul_f32_e32 v84, 0x3f5ff5aa, v30
	v_fma_f32 v30, 0x3f5ff5aa, v30, -v99
	v_dual_mul_f32 v36, 0x3f5ff5aa, v79 :: v_dual_sub_f32 v93, v96, v93
	v_sub_f32_e32 v90, v34, v26
	v_dual_sub_f32 v34, v28, v34 :: v_dual_mul_f32 v85, 0x3f4a47b2, v85
	s_delay_alu instid0(VALU_DEP_4)
	v_fmac_f32_e32 v30, 0x3ee1c552, v32
	v_mul_f32_e32 v98, 0xbf08b237, v98
	v_mul_f32_e32 v92, 0x3d64c772, v75
	v_fmamk_f32 v99, v38, 0x3eae86e6, v99
	v_dual_add_f32 v69, v72, v69 :: v_dual_sub_f32 v26, v26, v28
	v_mul_f32_e32 v73, 0xbf08b237, v73
	v_fma_f32 v104, 0x3f5ff5aa, v79, -v98
	v_fmamk_f32 v98, v9, 0x3eae86e6, v98
	v_fma_f32 v9, 0xbeae86e6, v9, -v36
	v_dual_add_f32 v28, v39, v28 :: v_dual_mul_f32 v39, 0x3f4a47b2, v81
	v_mul_f32_e32 v81, 0x3d64c772, v93
	v_fma_f32 v92, 0x3f3bfb3b, v86, -v92
	s_delay_alu instid0(VALU_DEP_4)
	v_fmac_f32_e32 v9, 0x3ee1c552, v29
	v_fma_f32 v38, 0xbeae86e6, v38, -v84
	v_fmac_f32_e32 v98, 0x3ee1c552, v29
	v_dual_fmac_f32 v104, 0x3ee1c552, v29 :: v_dual_mul_f32 v29, v69, v11
	v_fmamk_f32 v75, v75, 0x3d64c772, v40
	v_fma_f32 v40, 0xbf3bfb3b, v86, -v40
	v_mul_f32_e32 v86, 0x3d64c772, v95
	v_add_f32_e32 v96, v96, v100
	v_fma_f32 v81, 0x3f3bfb3b, v102, -v81
	v_fmac_f32_e32 v38, 0x3ee1c552, v32
	v_fmamk_f32 v84, v93, 0x3d64c772, v39
	v_fma_f32 v93, 0xbf3bfb3b, v102, -v39
	v_fma_f32 v86, 0x3f3bfb3b, v103, -v86
	v_fma_f32 v102, 0xbf3bfb3b, v103, -v85
	v_dual_fmamk_f32 v103, v10, 0x3eae86e6, v73 :: v_dual_add_f32 v68, v31, v68
	v_mul_f32_e32 v90, 0xbf08b237, v90
	v_mul_f32_e32 v36, 0x3f5ff5aa, v26
	v_fmamk_f32 v95, v95, 0x3d64c772, v85
	s_delay_alu instid0(VALU_DEP_4) | instskip(SKIP_4) | instid1(VALU_DEP_4)
	v_fmac_f32_e32 v103, 0x3ee1c552, v37
	v_dual_mul_f32 v74, 0x3f4a47b2, v74 :: v_dual_mul_f32 v79, v68, v11
	v_mul_f32_e32 v100, 0x3d64c772, v78
	v_fma_f32 v130, 0x3f5ff5aa, v26, -v90
	v_fmamk_f32 v26, v72, 0xbf955555, v69
	v_fmamk_f32 v78, v78, 0x3d64c772, v74
	v_fma_f32 v74, 0xbf3bfb3b, v87, -v74
	v_fmac_f32_e32 v79, v69, v12
	v_fma_f32 v100, 0x3f3bfb3b, v87, -v100
	v_mul_f32_e32 v87, 0x3f5ff5aa, v94
	v_dual_add_f32 v66, v96, v66 :: v_dual_fmac_f32 v99, 0x3ee1c552, v32
	v_fma_f32 v94, 0x3f5ff5aa, v94, -v73
	v_fmamk_f32 v90, v34, 0x3eae86e6, v90
	s_delay_alu instid0(VALU_DEP_4) | instskip(SKIP_2) | instid1(VALU_DEP_3)
	v_fma_f32 v129, 0xbeae86e6, v10, -v87
	v_dual_fmamk_f32 v10, v31, 0xbf955555, v68 :: v_dual_add_f32 v87, v78, v26
	v_fma_f32 v78, v68, v12, -v29
	v_dual_fmac_f32 v90, 0x3ee1c552, v28 :: v_dual_fmac_f32 v129, 0x3ee1c552, v37
	s_delay_alu instid0(VALU_DEP_3) | instskip(SKIP_2) | instid1(VALU_DEP_3)
	v_add_f32_e32 v85, v75, v10
	v_add_f32_e32 v11, v92, v10
	;; [unrolled: 1-line block ×4, first 2 shown]
	s_delay_alu instid0(VALU_DEP_3) | instskip(NEXT) | instid1(VALU_DEP_3)
	v_sub_f32_e32 v68, v11, v30
	v_dual_add_f32 v29, v38, v10 :: v_dual_fmac_f32 v130, 0x3ee1c552, v28
	v_sub_f32_e32 v99, v85, v99
	v_add_f32_e32 v69, v30, v11
	s_delay_alu instid0(VALU_DEP_4) | instskip(NEXT) | instid1(VALU_DEP_4)
	v_mul_f32_e32 v85, v68, v70
	v_mul_f32_e32 v73, v29, v27
	v_fma_f32 v132, 0xbeae86e6, v34, -v36
	v_mul_f32_e32 v75, v12, v25
	v_fmac_f32_e32 v94, 0x3ee1c552, v37
	s_delay_alu instid0(VALU_DEP_3) | instskip(SKIP_2) | instid1(VALU_DEP_2)
	v_fmac_f32_e32 v132, 0x3ee1c552, v28
	v_add_f32_e32 v28, v100, v26
	v_add_f32_e32 v26, v74, v26
	;; [unrolled: 1-line block ×3, first 2 shown]
	v_sub_f32_e32 v100, v28, v104
	s_delay_alu instid0(VALU_DEP_3) | instskip(SKIP_1) | instid1(VALU_DEP_2)
	v_dual_sub_f32 v28, v26, v9 :: v_dual_add_f32 v133, v9, v26
	v_and_b32_e32 v9, 0xff, v128
	v_fmac_f32_e32 v73, v28, v35
	v_dual_sub_f32 v11, v87, v98 :: v_dual_add_f32 v98, v98, v87
	v_mul_f32_e32 v87, v69, v76
	v_and_b32_e32 v8, 0x7f8, v8
	v_lshlrev_b32_e32 v9, 3, v9
	s_delay_alu instid0(VALU_DEP_4) | instskip(SKIP_3) | instid1(VALU_DEP_3)
	v_dual_fmac_f32 v75, v11, v33 :: v_dual_sub_f32 v104, v10, v38
	v_mul_f32_e32 v10, v11, v25
	v_or_b32_e32 v11, 0x50, v127
	v_mul_f32_e32 v25, v28, v27
	v_fma_f32 v74, v12, v33, -v10
	v_or_b32_e32 v12, 0x60, v127
	v_lshrrev_b32_e32 v10, 5, v128
	v_mul_lo_u32 v11, v49, v11
	v_fma_f32 v72, v29, v35, -v25
	v_and_b32_e32 v25, 0xff, v131
	v_mul_lo_u32 v12, v49, v12
	v_and_b32_e32 v10, 0x7f8, v10
	s_clause 0x3
	global_load_b64 v[37:38], v143, s[0:1]
	global_load_b64 v[39:40], v8, s[0:1] offset:2048
	global_load_b64 v[29:30], v9, s[0:1]
	global_load_b64 v[31:32], v10, s[0:1] offset:2048
	v_lshrrev_b32_e32 v9, 5, v131
	v_and_b32_e32 v10, 0xff, v11
	v_lshrrev_b32_e32 v11, 5, v11
	v_lshlrev_b32_e32 v8, 3, v25
	v_and_b32_e32 v25, 0xff, v12
	v_lshrrev_b32_e32 v12, 5, v12
	v_and_b32_e32 v9, 0x7f8, v9
	v_lshlrev_b32_e32 v10, 3, v10
	v_and_b32_e32 v11, 0x7f8, v11
	v_lshlrev_b32_e32 v127, 3, v25
	v_and_b32_e32 v12, 0x7f8, v12
	s_clause 0x5
	global_load_b64 v[33:34], v8, s[0:1]
	global_load_b64 v[35:36], v9, s[0:1] offset:2048
	global_load_b64 v[25:26], v10, s[0:1]
	global_load_b64 v[27:28], v11, s[0:1] offset:2048
	;; [unrolled: 2-line block ×3, first 2 shown]
	v_fmamk_f32 v12, v96, 0xbf955555, v66
	v_fmamk_f32 v96, v105, 0xbf955555, v67
	s_delay_alu instid0(VALU_DEP_2) | instskip(SKIP_3) | instid1(VALU_DEP_3)
	v_add_f32_e32 v127, v81, v12
	v_mul_f32_e32 v81, v92, v70
	v_add_f32_e32 v105, v84, v12
	v_mul_f32_e32 v70, v100, v76
	v_fma_f32 v84, v68, v71, -v81
	v_mul_f32_e32 v68, v133, v80
	v_mul_f32_e32 v81, v104, v80
	s_delay_alu instid0(VALU_DEP_2)
	v_fma_f32 v80, v104, v83, -v68
	v_add_f32_e32 v68, v90, v105
	v_add_f32_e32 v128, v86, v96
	v_fma_f32 v86, v69, v77, -v70
	v_dual_fmac_f32 v81, v133, v83 :: v_dual_mul_f32 v70, v98, v82
	v_mul_f32_e32 v83, v99, v82
	v_mul_f32_e32 v69, v67, v91
	v_fmac_f32_e32 v85, v92, v71
	v_mul_f32_e32 v71, v66, v91
	v_fma_f32 v82, v99, v97, -v70
	v_fmac_f32_e32 v83, v98, v97
	s_wait_loadcnt 0x16
	v_mul_f32_e32 v97, v41, v44
	v_add_f32_e32 v12, v93, v12
	v_dual_mul_f32 v44, v42, v44 :: v_dual_fmac_f32 v87, v100, v77
	v_fma_f32 v70, v66, v88, -v69
	s_delay_alu instid0(VALU_DEP_4) | instskip(NEXT) | instid1(VALU_DEP_4)
	v_fmac_f32_e32 v97, v42, v43
	v_add_f32_e32 v99, v132, v12
	v_add_f32_e32 v95, v95, v96
	;; [unrolled: 1-line block ×3, first 2 shown]
	v_fma_f32 v41, v41, v43, -v44
	s_wait_loadcnt 0x14
	v_mul_f32_e32 v43, v45, v48
	v_fmac_f32_e32 v71, v67, v88
	v_dual_mul_f32 v77, v68, v89 :: v_dual_add_f32 v92, v94, v128
	s_delay_alu instid0(VALU_DEP_3)
	v_dual_sub_f32 v94, v128, v94 :: v_dual_fmac_f32 v43, v46, v47
	v_sub_f32_e32 v98, v93, v129
	v_mul_f32_e32 v69, v99, v97
	v_sub_f32_e32 v100, v95, v103
	v_mul_f32_e32 v44, v46, v48
	v_sub_f32_e32 v90, v105, v90
	s_wait_loadcnt 0x12
	v_mul_f32_e32 v48, v115, v118
	v_mul_f32_e32 v42, v98, v97
	v_fmac_f32_e32 v69, v98, v41
	v_dual_sub_f32 v91, v127, v130 :: v_dual_add_f32 v96, v130, v127
	s_delay_alu instid0(VALU_DEP_4) | instskip(SKIP_1) | instid1(VALU_DEP_3)
	v_fmac_f32_e32 v48, v116, v117
	v_dual_mul_f32 v76, v100, v89 :: v_dual_add_f32 v89, v103, v95
	v_mul_f32_e32 v46, v91, v43
	v_add_f32_e32 v66, v129, v93
	v_sub_f32_e32 v12, v12, v132
	s_delay_alu instid0(VALU_DEP_4)
	v_fma_f32 v76, v68, v101, -v76
	v_fma_f32 v68, v99, v41, -v42
	v_mul_f32_e32 v41, v116, v118
	v_fma_f32 v42, v45, v47, -v44
	v_mul_f32_e32 v45, v92, v43
	v_mul_f32_e32 v43, v94, v48
	v_fmac_f32_e32 v77, v100, v101
	v_fma_f32 v41, v115, v117, -v41
	v_fmac_f32_e32 v46, v92, v42
	v_fma_f32 v45, v91, v42, -v45
	s_wait_loadcnt 0x10
	v_dual_mul_f32 v47, v119, v122 :: v_dual_mul_f32 v44, v96, v48
	v_fma_f32 v43, v96, v41, -v43
	v_mul_f32_e32 v42, v120, v122
	s_wait_loadcnt 0xe
	v_mul_f32_e32 v48, v124, v126
	v_fmac_f32_e32 v47, v120, v121
	v_dual_fmac_f32 v44, v94, v41 :: v_dual_mul_f32 v41, v123, v126
	v_fma_f32 v42, v119, v121, -v42
	s_delay_alu instid0(VALU_DEP_4) | instskip(NEXT) | instid1(VALU_DEP_4)
	v_fma_f32 v91, v123, v125, -v48
	v_mul_f32_e32 v88, v66, v47
	v_mul_f32_e32 v48, v12, v47
	v_fmac_f32_e32 v41, v124, v125
	s_delay_alu instid0(VALU_DEP_3) | instskip(NEXT) | instid1(VALU_DEP_3)
	v_fma_f32 v47, v12, v42, -v88
	v_fmac_f32_e32 v48, v66, v42
	s_delay_alu instid0(VALU_DEP_3) | instskip(SKIP_1) | instid1(VALU_DEP_2)
	v_mul_f32_e32 v92, v89, v41
	v_mul_f32_e32 v67, v90, v41
	v_fma_f32 v66, v90, v91, -v92
	s_delay_alu instid0(VALU_DEP_2)
	v_fmac_f32_e32 v67, v89, v91
	s_wait_alu 0xfffe
	s_cbranch_vccnz .LBB0_14
; %bb.13:
	v_mad_co_u64_u32 v[41:42], null, s4, v107, 0
	v_mad_co_u64_u32 v[88:89], null, s8, v106, 0
	;; [unrolled: 1-line block ×4, first 2 shown]
	s_delay_alu instid0(VALU_DEP_4) | instskip(SKIP_1) | instid1(VALU_DEP_4)
	v_mov_b32_e32 v12, v42
	s_lshl_b64 s[0:1], s[6:7], 3
	v_mov_b32_e32 v42, v89
	s_add_nc_u64 s[0:1], s[12:13], s[0:1]
	s_and_b32 s16, s2, exec_lo
	v_mad_co_u64_u32 v[94:95], null, s5, v107, v[12:13]
	s_delay_alu instid0(VALU_DEP_2) | instskip(SKIP_2) | instid1(VALU_DEP_4)
	v_mad_co_u64_u32 v[95:96], null, s9, v106, v[42:43]
	v_dual_mov_b32 v12, v91 :: v_dual_mov_b32 v91, v93
	v_mad_co_u64_u32 v[96:97], null, s8, v111, 0
	v_mov_b32_e32 v42, v94
	s_delay_alu instid0(VALU_DEP_3) | instskip(SKIP_3) | instid1(VALU_DEP_3)
	v_mad_co_u64_u32 v[93:94], null, s9, v112, v[12:13]
	v_mov_b32_e32 v89, v95
	v_mad_co_u64_u32 v[94:95], null, s9, v113, v[91:92]
	v_mov_b32_e32 v12, v97
	v_lshlrev_b64_e32 v[88:89], 3, v[88:89]
	v_mov_b32_e32 v91, v93
	s_delay_alu instid0(VALU_DEP_4) | instskip(SKIP_1) | instid1(VALU_DEP_3)
	v_mov_b32_e32 v93, v94
	v_lshlrev_b64_e32 v[41:42], 3, v[41:42]
	v_lshlrev_b64_e32 v[90:91], 3, v[90:91]
	v_mad_co_u64_u32 v[94:95], null, s9, v111, v[12:13]
	s_delay_alu instid0(VALU_DEP_4) | instskip(NEXT) | instid1(VALU_DEP_4)
	v_lshlrev_b64_e32 v[92:93], 3, v[92:93]
	v_add_co_u32 v41, vcc_lo, s0, v41
	s_wait_alu 0xfffd
	v_add_co_ci_u32_e32 v42, vcc_lo, s1, v42, vcc_lo
	s_delay_alu instid0(VALU_DEP_4) | instskip(NEXT) | instid1(VALU_DEP_3)
	v_mov_b32_e32 v97, v94
	v_add_co_u32 v88, vcc_lo, v41, v88
	s_wait_alu 0xfffd
	s_delay_alu instid0(VALU_DEP_3)
	v_add_co_ci_u32_e32 v89, vcc_lo, v42, v89, vcc_lo
	v_add_co_u32 v90, vcc_lo, v41, v90
	s_wait_alu 0xfffd
	v_add_co_ci_u32_e32 v91, vcc_lo, v42, v91, vcc_lo
	global_store_b64 v[88:89], v[78:79], off
	v_mad_co_u64_u32 v[88:89], null, s8, v114, 0
	v_add_co_u32 v92, vcc_lo, v41, v92
	s_wait_alu 0xfffd
	v_add_co_ci_u32_e32 v93, vcc_lo, v42, v93, vcc_lo
	s_clause 0x1
	global_store_b64 v[90:91], v[74:75], off
	global_store_b64 v[92:93], v[72:73], off
	v_mov_b32_e32 v12, v89
	v_mad_co_u64_u32 v[92:93], null, s8, v110, 0
	v_lshlrev_b64_e32 v[90:91], 3, v[96:97]
	s_delay_alu instid0(VALU_DEP_3) | instskip(SKIP_1) | instid1(VALU_DEP_3)
	v_mad_co_u64_u32 v[98:99], null, s9, v114, v[12:13]
	v_mad_co_u64_u32 v[99:100], null, s8, v109, 0
	v_add_co_u32 v90, vcc_lo, v41, v90
	s_wait_alu 0xfffd
	s_delay_alu instid0(VALU_DEP_4) | instskip(NEXT) | instid1(VALU_DEP_3)
	v_add_co_ci_u32_e32 v91, vcc_lo, v42, v91, vcc_lo
	v_dual_mov_b32 v89, v98 :: v_dual_mov_b32 v12, v100
	s_delay_alu instid0(VALU_DEP_1) | instskip(NEXT) | instid1(VALU_DEP_2)
	v_lshlrev_b64_e32 v[88:89], 3, v[88:89]
	v_mad_co_u64_u32 v[94:95], null, s9, v109, v[12:13]
	v_mov_b32_e32 v12, v93
	v_lshrrev_b32_e32 v93, 4, v51
	s_delay_alu instid0(VALU_DEP_4)
	v_add_co_u32 v88, vcc_lo, v41, v88
	s_wait_alu 0xfffd
	v_add_co_ci_u32_e32 v89, vcc_lo, v42, v89, vcc_lo
	v_mad_co_u64_u32 v[95:96], null, s9, v110, v[12:13]
	v_mad_co_u64_u32 v[96:97], null, 0x60, v93, v[51:52]
	s_clause 0x1
	global_store_b64 v[90:91], v[84:85], off
	global_store_b64 v[88:89], v[86:87], off
	v_mov_b32_e32 v93, v95
	v_mad_co_u64_u32 v[90:91], null, s8, v96, 0
	v_add_nc_u32_e32 v102, 32, v96
	s_delay_alu instid0(VALU_DEP_3) | instskip(NEXT) | instid1(VALU_DEP_3)
	v_lshlrev_b64_e32 v[92:93], 3, v[92:93]
	v_mov_b32_e32 v12, v91
	s_delay_alu instid0(VALU_DEP_1) | instskip(SKIP_1) | instid1(VALU_DEP_1)
	v_mad_co_u64_u32 v[97:98], null, s9, v96, v[12:13]
	v_mov_b32_e32 v100, v94
	v_lshlrev_b64_e32 v[88:89], 3, v[99:100]
	v_add_nc_u32_e32 v100, 16, v96
	v_mad_co_u64_u32 v[98:99], null, s8, v102, 0
	s_delay_alu instid0(VALU_DEP_2) | instskip(NEXT) | instid1(VALU_DEP_4)
	v_mad_co_u64_u32 v[94:95], null, s8, v100, 0
	v_add_co_u32 v88, vcc_lo, v41, v88
	s_wait_alu 0xfffd
	v_add_co_ci_u32_e32 v89, vcc_lo, v42, v89, vcc_lo
	v_add_co_u32 v92, vcc_lo, v41, v92
	s_delay_alu instid0(VALU_DEP_4)
	v_dual_mov_b32 v91, v95 :: v_dual_mov_b32 v12, v99
	s_wait_alu 0xfffd
	v_add_co_ci_u32_e32 v93, vcc_lo, v42, v93, vcc_lo
	global_store_b64 v[88:89], v[80:81], off
	v_mad_co_u64_u32 v[100:101], null, s9, v100, v[91:92]
	v_mov_b32_e32 v91, v97
	global_store_b64 v[92:93], v[82:83], off
	v_lshlrev_b64_e32 v[88:89], 3, v[90:91]
	v_mov_b32_e32 v95, v100
	v_mad_co_u64_u32 v[90:91], null, s9, v102, v[12:13]
	v_add_nc_u32_e32 v100, 0x60, v96
	s_delay_alu instid0(VALU_DEP_3) | instskip(SKIP_4) | instid1(VALU_DEP_3)
	v_lshlrev_b64_e32 v[91:92], 3, v[94:95]
	v_add_nc_u32_e32 v95, 48, v96
	v_add_co_u32 v88, vcc_lo, v41, v88
	s_wait_alu 0xfffd
	v_add_co_ci_u32_e32 v89, vcc_lo, v42, v89, vcc_lo
	v_mad_co_u64_u32 v[93:94], null, s8, v95, 0
	v_mov_b32_e32 v99, v90
	v_add_co_u32 v90, vcc_lo, v41, v91
	s_wait_alu 0xfffd
	v_add_co_ci_u32_e32 v91, vcc_lo, v42, v92, vcc_lo
	v_add_nc_u32_e32 v92, 64, v96
	v_mov_b32_e32 v12, v94
	global_store_b64 v[88:89], v[70:71], off
	v_lshlrev_b64_e32 v[88:89], 3, v[98:99]
	v_add_nc_u32_e32 v99, 0x50, v96
	global_store_b64 v[90:91], v[76:77], off
	v_mad_co_u64_u32 v[90:91], null, s8, v92, 0
	v_mad_co_u64_u32 v[94:95], null, s9, v95, v[12:13]
	;; [unrolled: 1-line block ×3, first 2 shown]
	v_add_co_u32 v88, vcc_lo, v41, v88
	s_delay_alu instid0(VALU_DEP_4) | instskip(SKIP_3) | instid1(VALU_DEP_3)
	v_mov_b32_e32 v12, v91
	s_wait_alu 0xfffd
	v_add_co_ci_u32_e32 v89, vcc_lo, v42, v89, vcc_lo
	v_mad_co_u64_u32 v[97:98], null, s8, v100, 0
	v_mad_co_u64_u32 v[91:92], null, s9, v92, v[12:13]
	v_mov_b32_e32 v12, v96
	global_store_b64 v[88:89], v[68:69], off
	v_lshlrev_b64_e32 v[88:89], 3, v[93:94]
	v_mov_b32_e32 v92, v98
	v_mad_co_u64_u32 v[93:94], null, s9, v99, v[12:13]
	v_lshlrev_b64_e32 v[90:91], 3, v[90:91]
	s_delay_alu instid0(VALU_DEP_4) | instskip(SKIP_2) | instid1(VALU_DEP_4)
	v_add_co_u32 v88, vcc_lo, v41, v88
	s_wait_alu 0xfffd
	v_add_co_ci_u32_e32 v89, vcc_lo, v42, v89, vcc_lo
	v_mad_co_u64_u32 v[98:99], null, s9, v100, v[92:93]
	v_mov_b32_e32 v96, v93
	v_add_co_u32 v90, vcc_lo, v41, v90
	s_wait_alu 0xfffd
	v_add_co_ci_u32_e32 v91, vcc_lo, v42, v91, vcc_lo
	global_store_b64 v[88:89], v[45:46], off
	v_lshlrev_b64_e32 v[88:89], 3, v[95:96]
	global_store_b64 v[90:91], v[43:44], off
	v_lshlrev_b64_e32 v[90:91], 3, v[97:98]
	v_add_co_u32 v88, vcc_lo, v41, v88
	s_wait_alu 0xfffd
	v_add_co_ci_u32_e32 v89, vcc_lo, v42, v89, vcc_lo
	s_delay_alu instid0(VALU_DEP_3)
	v_add_co_u32 v90, vcc_lo, v41, v90
	s_wait_alu 0xfffd
	v_add_co_ci_u32_e32 v91, vcc_lo, v42, v91, vcc_lo
	s_clause 0x1
	global_store_b64 v[88:89], v[47:48], off
	global_store_b64 v[90:91], v[66:67], off
	s_cbranch_execz .LBB0_15
	s_branch .LBB0_18
.LBB0_14:
                                        ; implicit-def: $vgpr41_vgpr42
.LBB0_15:
	s_mov_b32 s0, exec_lo
                                        ; implicit-def: $vgpr41_vgpr42
	v_cmpx_gt_u64_e64 s[10:11], v[49:50]
	s_cbranch_execz .LBB0_17
; %bb.16:
	v_mad_co_u64_u32 v[41:42], null, s4, v107, 0
	v_mad_co_u64_u32 v[49:50], null, s8, v106, 0
	;; [unrolled: 1-line block ×4, first 2 shown]
	s_delay_alu instid0(VALU_DEP_4) | instskip(SKIP_2) | instid1(VALU_DEP_4)
	v_mov_b32_e32 v12, v42
	s_wait_alu 0xfffe
	s_and_not1_b32 s1, s16, exec_lo
	v_mov_b32_e32 v42, v50
	s_and_b32 s2, s2, exec_lo
	s_wait_alu 0xfffe
	s_or_b32 s16, s1, s2
	v_mad_co_u64_u32 v[92:93], null, s5, v107, v[12:13]
	v_mad_co_u64_u32 v[93:94], null, s9, v106, v[42:43]
	v_mov_b32_e32 v12, v89
	s_lshl_b64 s[4:5], s[6:7], 3
	v_mov_b32_e32 v89, v91
	s_wait_alu 0xfffe
	s_add_nc_u64 s[4:5], s[12:13], s[4:5]
	s_delay_alu instid0(VALU_DEP_4) | instskip(SKIP_3) | instid1(VALU_DEP_4)
	v_mov_b32_e32 v42, v92
	v_mad_co_u64_u32 v[91:92], null, s9, v112, v[12:13]
	v_mov_b32_e32 v50, v93
	v_mad_co_u64_u32 v[92:93], null, s9, v113, v[89:90]
	v_lshlrev_b64_e32 v[41:42], 3, v[41:42]
	v_mad_co_u64_u32 v[94:95], null, s8, v111, 0
	s_delay_alu instid0(VALU_DEP_4) | instskip(SKIP_2) | instid1(VALU_DEP_4)
	v_lshlrev_b64_e32 v[49:50], 3, v[49:50]
	v_mov_b32_e32 v89, v91
	s_wait_alu 0xfffe
	v_add_co_u32 v41, vcc_lo, s4, v41
	s_wait_alu 0xfffd
	v_add_co_ci_u32_e32 v42, vcc_lo, s5, v42, vcc_lo
	v_mov_b32_e32 v91, v92
	s_delay_alu instid0(VALU_DEP_3) | instskip(SKIP_1) | instid1(VALU_DEP_3)
	v_add_co_u32 v49, vcc_lo, v41, v49
	s_wait_alu 0xfffd
	v_add_co_ci_u32_e32 v50, vcc_lo, v42, v50, vcc_lo
	v_lshlrev_b64_e32 v[88:89], 3, v[88:89]
	v_mov_b32_e32 v12, v95
	v_lshlrev_b64_e32 v[90:91], 3, v[90:91]
	global_store_b64 v[49:50], v[78:79], off
	v_mad_co_u64_u32 v[49:50], null, s8, v114, 0
	v_add_co_u32 v78, vcc_lo, v41, v88
	s_wait_alu 0xfffd
	v_add_co_ci_u32_e32 v79, vcc_lo, v42, v89, vcc_lo
	v_mad_co_u64_u32 v[88:89], null, s9, v111, v[12:13]
	s_delay_alu instid0(VALU_DEP_4) | instskip(SKIP_3) | instid1(VALU_DEP_3)
	v_mov_b32_e32 v12, v50
	v_add_co_u32 v89, vcc_lo, v41, v90
	s_wait_alu 0xfffd
	v_add_co_ci_u32_e32 v90, vcc_lo, v42, v91, vcc_lo
	v_mad_co_u64_u32 v[91:92], null, s9, v114, v[12:13]
	v_mad_co_u64_u32 v[92:93], null, s8, v109, 0
	s_clause 0x1
	global_store_b64 v[78:79], v[74:75], off
	global_store_b64 v[89:90], v[72:73], off
	v_mad_co_u64_u32 v[74:75], null, s8, v110, 0
	v_dual_mov_b32 v95, v88 :: v_dual_mov_b32 v50, v91
	v_mov_b32_e32 v12, v93
	s_delay_alu instid0(VALU_DEP_2) | instskip(NEXT) | instid1(VALU_DEP_3)
	v_lshlrev_b64_e32 v[72:73], 3, v[94:95]
	v_lshlrev_b64_e32 v[49:50], 3, v[49:50]
	s_delay_alu instid0(VALU_DEP_3)
	v_mad_co_u64_u32 v[78:79], null, s9, v109, v[12:13]
	v_mov_b32_e32 v12, v75
	v_lshrrev_b32_e32 v75, 4, v51
	v_add_co_u32 v72, vcc_lo, v41, v72
	s_wait_alu 0xfffd
	v_add_co_ci_u32_e32 v73, vcc_lo, v42, v73, vcc_lo
	v_mad_co_u64_u32 v[88:89], null, s9, v110, v[12:13]
	v_mad_co_u64_u32 v[89:90], null, 0x60, v75, v[51:52]
	v_add_co_u32 v49, vcc_lo, v41, v49
	s_wait_alu 0xfffd
	v_add_co_ci_u32_e32 v50, vcc_lo, v42, v50, vcc_lo
	s_clause 0x1
	global_store_b64 v[72:73], v[84:85], off
	global_store_b64 v[49:50], v[86:87], off
	v_add_nc_u32_e32 v87, 16, v89
	v_mov_b32_e32 v93, v78
	v_mad_co_u64_u32 v[72:73], null, s8, v89, 0
	v_mov_b32_e32 v75, v88
	s_delay_alu instid0(VALU_DEP_4) | instskip(NEXT) | instid1(VALU_DEP_4)
	v_mad_co_u64_u32 v[78:79], null, s8, v87, 0
	v_lshlrev_b64_e32 v[49:50], 3, v[92:93]
	v_add_nc_u32_e32 v90, 32, v89
	s_delay_alu instid0(VALU_DEP_4) | instskip(NEXT) | instid1(VALU_DEP_4)
	v_lshlrev_b64_e32 v[74:75], 3, v[74:75]
	v_dual_mov_b32 v12, v73 :: v_dual_mov_b32 v51, v79
	s_delay_alu instid0(VALU_DEP_4) | instskip(SKIP_2) | instid1(VALU_DEP_3)
	v_add_co_u32 v49, vcc_lo, v41, v49
	s_wait_alu 0xfffd
	v_add_co_ci_u32_e32 v50, vcc_lo, v42, v50, vcc_lo
	v_mad_co_u64_u32 v[87:88], null, s9, v87, v[51:52]
	v_add_nc_u32_e32 v51, 48, v89
	v_mad_co_u64_u32 v[84:85], null, s9, v89, v[12:13]
	v_mad_co_u64_u32 v[85:86], null, s8, v90, 0
	v_add_co_u32 v74, vcc_lo, v41, v74
	global_store_b64 v[49:50], v[80:81], off
	s_wait_alu 0xfffd
	v_add_co_ci_u32_e32 v75, vcc_lo, v42, v75, vcc_lo
	v_dual_mov_b32 v73, v84 :: v_dual_mov_b32 v12, v86
	v_mov_b32_e32 v79, v87
	global_store_b64 v[74:75], v[82:83], off
	v_add_nc_u32_e32 v75, 64, v89
	v_lshlrev_b64_e32 v[49:50], 3, v[72:73]
	v_mad_co_u64_u32 v[72:73], null, s9, v90, v[12:13]
	v_lshlrev_b64_e32 v[73:74], 3, v[78:79]
	v_mad_co_u64_u32 v[78:79], null, s8, v51, 0
	s_delay_alu instid0(VALU_DEP_4)
	v_add_co_u32 v49, vcc_lo, v41, v49
	s_wait_alu 0xfffd
	v_add_co_ci_u32_e32 v50, vcc_lo, v42, v50, vcc_lo
	v_dual_mov_b32 v86, v72 :: v_dual_add_nc_u32 v81, 0x60, v89
	v_add_co_u32 v72, vcc_lo, v41, v73
	global_store_b64 v[49:50], v[70:71], off
	v_mad_co_u64_u32 v[70:71], null, s8, v75, 0
	s_wait_alu 0xfffd
	v_add_co_ci_u32_e32 v73, vcc_lo, v42, v74, vcc_lo
	v_mov_b32_e32 v12, v79
	v_lshlrev_b64_e32 v[49:50], 3, v[85:86]
	global_store_b64 v[72:73], v[76:77], off
	v_mad_co_u64_u32 v[72:73], null, s9, v51, v[12:13]
	v_mov_b32_e32 v12, v71
	v_add_co_u32 v49, vcc_lo, v41, v49
	s_wait_alu 0xfffd
	v_add_co_ci_u32_e32 v50, vcc_lo, v42, v50, vcc_lo
	s_delay_alu instid0(VALU_DEP_3)
	v_mad_co_u64_u32 v[75:76], null, s9, v75, v[12:13]
	v_mad_co_u64_u32 v[76:77], null, s8, v81, 0
	v_dual_mov_b32 v79, v72 :: v_dual_add_nc_u32 v80, 0x50, v89
	global_store_b64 v[49:50], v[68:69], off
	v_mov_b32_e32 v71, v75
	v_mov_b32_e32 v51, v77
	v_mad_co_u64_u32 v[73:74], null, s8, v80, 0
	v_lshlrev_b64_e32 v[49:50], 3, v[78:79]
	s_delay_alu instid0(VALU_DEP_2) | instskip(NEXT) | instid1(VALU_DEP_2)
	v_mov_b32_e32 v12, v74
	v_add_co_u32 v49, vcc_lo, v41, v49
	s_wait_alu 0xfffd
	s_delay_alu instid0(VALU_DEP_3) | instskip(NEXT) | instid1(VALU_DEP_3)
	v_add_co_ci_u32_e32 v50, vcc_lo, v42, v50, vcc_lo
	v_mad_co_u64_u32 v[68:69], null, s9, v80, v[12:13]
	v_lshlrev_b64_e32 v[69:70], 3, v[70:71]
	v_mad_co_u64_u32 v[71:72], null, s9, v81, v[51:52]
	global_store_b64 v[49:50], v[45:46], off
	v_mov_b32_e32 v74, v68
	v_add_co_u32 v68, vcc_lo, v41, v69
	s_wait_alu 0xfffd
	v_add_co_ci_u32_e32 v69, vcc_lo, v42, v70, vcc_lo
	v_mov_b32_e32 v77, v71
	v_lshlrev_b64_e32 v[45:46], 3, v[73:74]
	global_store_b64 v[68:69], v[43:44], off
	v_lshlrev_b64_e32 v[43:44], 3, v[76:77]
	v_add_co_u32 v45, vcc_lo, v41, v45
	s_wait_alu 0xfffd
	v_add_co_ci_u32_e32 v46, vcc_lo, v42, v46, vcc_lo
	s_delay_alu instid0(VALU_DEP_3)
	v_add_co_u32 v43, vcc_lo, v41, v43
	s_wait_alu 0xfffd
	v_add_co_ci_u32_e32 v44, vcc_lo, v42, v44, vcc_lo
	s_clause 0x1
	global_store_b64 v[45:46], v[47:48], off
	global_store_b64 v[43:44], v[66:67], off
.LBB0_17:
	s_wait_alu 0xfffe
	s_or_b32 exec_lo, exec_lo, s0
.LBB0_18:
	s_wait_alu 0xfffe
	s_and_saveexec_b32 s0, s16
	s_cbranch_execnz .LBB0_20
; %bb.19:
	s_nop 0
	s_sendmsg sendmsg(MSG_DEALLOC_VGPRS)
	s_endpgm
.LBB0_20:
	v_mul_f32_e32 v12, v55, v22
	v_dual_mul_f32 v22, v54, v22 :: v_dual_mul_f32 v43, v63, v24
	v_mul_f32_e32 v24, v62, v24
	s_delay_alu instid0(VALU_DEP_2) | instskip(NEXT) | instid1(VALU_DEP_2)
	v_fma_f32 v43, v62, v23, -v43
	v_dual_fmac_f32 v24, v63, v23 :: v_dual_mul_f32 v23, v61, v20
	v_fma_f32 v12, v54, v21, -v12
	v_mul_f32_e32 v44, v57, v16
	v_mul_f32_e32 v16, v56, v16
	s_delay_alu instid0(VALU_DEP_4) | instskip(SKIP_1) | instid1(VALU_DEP_3)
	v_fma_f32 v23, v60, v19, -v23
	v_dual_fmac_f32 v22, v55, v21 :: v_dual_mul_f32 v21, v65, v14
	v_fmac_f32_e32 v16, v57, v15
	s_delay_alu instid0(VALU_DEP_2) | instskip(SKIP_1) | instid1(VALU_DEP_1)
	v_fma_f32 v21, v64, v13, -v21
	v_mul_f32_e32 v20, v60, v20
	v_fmac_f32_e32 v20, v61, v19
	v_mul_f32_e32 v14, v64, v14
	s_delay_alu instid0(VALU_DEP_1) | instskip(SKIP_3) | instid1(VALU_DEP_2)
	v_fmac_f32_e32 v14, v65, v13
	v_fma_f32 v13, v56, v15, -v44
	v_mul_f32_e32 v44, v59, v18
	v_mul_f32_e32 v18, v58, v18
	v_fma_f32 v15, v58, v17, -v44
	s_delay_alu instid0(VALU_DEP_2) | instskip(SKIP_2) | instid1(VALU_DEP_4)
	v_dual_fmac_f32 v18, v59, v17 :: v_dual_add_f32 v17, v12, v23
	v_add_f32_e32 v19, v22, v20
	v_sub_f32_e32 v20, v22, v20
	v_add_f32_e32 v22, v43, v15
	v_sub_f32_e32 v15, v43, v15
	v_dual_add_f32 v43, v14, v16 :: v_dual_sub_f32 v12, v12, v23
	v_add_f32_e32 v23, v24, v18
	v_sub_f32_e32 v18, v24, v18
	v_add_f32_e32 v24, v21, v13
	v_sub_f32_e32 v13, v13, v21
	s_delay_alu instid0(VALU_DEP_4) | instskip(SKIP_3) | instid1(VALU_DEP_4)
	v_add_f32_e32 v21, v23, v19
	v_sub_f32_e32 v45, v23, v19
	v_sub_f32_e32 v19, v19, v43
	;; [unrolled: 1-line block ×3, first 2 shown]
	v_dual_add_f32 v21, v43, v21 :: v_dual_sub_f32 v14, v16, v14
	s_delay_alu instid0(VALU_DEP_3) | instskip(SKIP_1) | instid1(VALU_DEP_3)
	v_mul_f32_e32 v19, 0x3f4a47b2, v19
	v_sub_f32_e32 v48, v13, v15
	v_add_f32_e32 v43, v53, v21
	s_delay_alu instid0(VALU_DEP_4)
	v_add_f32_e32 v47, v14, v18
	v_dual_sub_f32 v49, v14, v18 :: v_dual_add_f32 v46, v13, v15
	v_sub_f32_e32 v13, v12, v13
	v_add_f32_e32 v16, v22, v17
	v_dual_sub_f32 v14, v20, v14 :: v_dual_fmamk_f32 v21, v21, 0xbf955555, v43
	v_sub_f32_e32 v18, v18, v20
	v_dual_add_f32 v20, v47, v20 :: v_dual_mul_f32 v47, 0x3d64c772, v23
	v_fmamk_f32 v23, v23, 0x3d64c772, v19
	v_sub_f32_e32 v15, v15, v12
	v_dual_mul_f32 v49, 0xbf08b237, v49 :: v_dual_add_f32 v16, v24, v16
	s_delay_alu instid0(VALU_DEP_4) | instskip(NEXT) | instid1(VALU_DEP_4)
	v_fma_f32 v47, 0x3f3bfb3b, v45, -v47
	v_add_f32_e32 v23, v23, v21
	v_dual_sub_f32 v44, v22, v17 :: v_dual_mul_f32 v51, 0x3f5ff5aa, v18
	v_dual_sub_f32 v17, v17, v24 :: v_dual_sub_f32 v22, v24, v22
	s_delay_alu instid0(VALU_DEP_4) | instskip(SKIP_1) | instid1(VALU_DEP_3)
	v_dual_add_f32 v12, v46, v12 :: v_dual_add_f32 v47, v47, v21
	v_fma_f32 v19, 0xbf3bfb3b, v45, -v19
	v_mul_f32_e32 v17, 0x3f4a47b2, v17
	s_delay_alu instid0(VALU_DEP_4) | instskip(SKIP_2) | instid1(VALU_DEP_4)
	v_mul_f32_e32 v46, 0x3d64c772, v22
	v_dual_fmamk_f32 v45, v14, 0x3eae86e6, v49 :: v_dual_add_f32 v24, v52, v16
	v_fma_f32 v18, 0x3f5ff5aa, v18, -v49
	v_fmamk_f32 v22, v22, 0x3d64c772, v17
	s_delay_alu instid0(VALU_DEP_4) | instskip(SKIP_3) | instid1(VALU_DEP_2)
	v_fma_f32 v46, 0x3f3bfb3b, v44, -v46
	v_fma_f32 v17, 0xbf3bfb3b, v44, -v17
	v_fmamk_f32 v16, v16, 0xbf955555, v24
	v_fma_f32 v14, 0xbeae86e6, v14, -v51
	v_add_f32_e32 v22, v22, v16
	v_add_f32_e32 v46, v46, v16
	v_mul_f32_e32 v48, 0xbf08b237, v48
	v_add_f32_e32 v16, v17, v16
	v_dual_mul_f32 v50, 0x3f5ff5aa, v15 :: v_dual_add_f32 v17, v19, v21
	s_delay_alu instid0(VALU_DEP_3) | instskip(NEXT) | instid1(VALU_DEP_2)
	v_fmamk_f32 v44, v13, 0x3eae86e6, v48
	v_fma_f32 v13, 0xbeae86e6, v13, -v50
	s_delay_alu instid0(VALU_DEP_2) | instskip(NEXT) | instid1(VALU_DEP_2)
	v_fmac_f32_e32 v44, 0x3ee1c552, v12
	v_fmac_f32_e32 v13, 0x3ee1c552, v12
	s_delay_alu instid0(VALU_DEP_1) | instskip(SKIP_1) | instid1(VALU_DEP_2)
	v_dual_sub_f32 v21, v17, v13 :: v_dual_fmac_f32 v18, 0x3ee1c552, v20
	v_fmac_f32_e32 v45, 0x3ee1c552, v20
	v_sub_f32_e32 v49, v46, v18
	v_fma_f32 v15, 0x3f5ff5aa, v15, -v48
	s_wait_loadcnt 0xc
	v_mul_f32_e32 v48, v4, v7
	v_mul_f32_e32 v7, v5, v7
	s_delay_alu instid0(VALU_DEP_2) | instskip(NEXT) | instid1(VALU_DEP_2)
	v_fmac_f32_e32 v48, v5, v6
	v_fma_f32 v6, v4, v6, -v7
	s_wait_loadcnt 0xa
	v_mul_f32_e32 v7, v0, v3
	v_mul_f32_e32 v3, v1, v3
	v_sub_f32_e32 v19, v23, v44
	v_add_f32_e32 v23, v44, v23
	v_dual_fmac_f32 v15, 0x3ee1c552, v12 :: v_dual_add_f32 v12, v45, v22
	v_dual_fmac_f32 v14, 0x3ee1c552, v20 :: v_dual_fmac_f32 v7, v1, v2
	s_delay_alu instid0(VALU_DEP_2)
	v_dual_mul_f32 v5, v24, v48 :: v_dual_add_f32 v50, v15, v47
	v_add_f32_e32 v51, v13, v17
	s_wait_loadcnt 0x8
	v_mul_f32_e32 v13, v37, v40
	v_fma_f32 v2, v0, v2, -v3
	v_mul_f32_e32 v0, v19, v7
	v_dual_fmac_f32 v5, v43, v6 :: v_dual_add_f32 v20, v14, v16
	v_mul_f32_e32 v1, v12, v7
	v_fmac_f32_e32 v13, v38, v39
	v_add_f32_e32 v18, v18, v46
	s_wait_loadcnt 0x6
	v_dual_sub_f32 v46, v47, v15 :: v_dual_mul_f32 v7, v29, v32
	v_fmac_f32_e32 v1, v19, v2
	v_mul_f32_e32 v3, v21, v13
	v_fma_f32 v0, v12, v2, -v0
	v_mul_f32_e32 v12, v30, v32
	v_dual_fmac_f32 v7, v30, v31 :: v_dual_mul_f32 v4, v43, v48
	s_wait_loadcnt 0x2
	v_dual_sub_f32 v47, v16, v14 :: v_dual_mul_f32 v16, v26, v28
	v_mul_f32_e32 v14, v34, v36
	v_sub_f32_e32 v45, v22, v45
	v_fma_f32 v4, v24, v6, -v4
	v_mul_f32_e32 v6, v38, v40
	s_delay_alu instid0(VALU_DEP_4) | instskip(NEXT) | instid1(VALU_DEP_2)
	v_fma_f32 v19, v33, v35, -v14
	v_fma_f32 v6, v37, v39, -v6
	s_delay_alu instid0(VALU_DEP_1)
	v_fma_f32 v2, v20, v6, -v3
	v_mul_f32_e32 v3, v20, v13
	v_dual_mul_f32 v13, v50, v7 :: v_dual_mul_f32 v20, v25, v28
	v_mul_f32_e32 v15, v33, v36
	v_mul_f32_e32 v7, v49, v7
	v_fma_f32 v12, v29, v31, -v12
	s_delay_alu instid0(VALU_DEP_4) | instskip(NEXT) | instid1(VALU_DEP_4)
	v_fmac_f32_e32 v20, v26, v27
	v_dual_fmac_f32 v15, v34, v35 :: v_dual_add_nc_u32 v26, 46, v106
	s_delay_alu instid0(VALU_DEP_2) | instskip(NEXT) | instid1(VALU_DEP_2)
	v_dual_mul_f32 v22, v51, v20 :: v_dual_fmac_f32 v3, v21, v6
	v_dual_mul_f32 v14, v46, v15 :: v_dual_add_nc_u32 v21, 30, v106
	v_fma_f32 v24, v25, v27, -v16
	s_wait_loadcnt 0x0
	v_mul_f32_e32 v25, v8, v11
	v_fma_f32 v6, v49, v12, -v13
	v_fma_f32 v14, v18, v19, -v14
	v_dual_mul_f32 v15, v18, v15 :: v_dual_mul_f32 v20, v47, v20
	s_delay_alu instid0(VALU_DEP_4)
	v_fmac_f32_e32 v25, v9, v10
	v_fmac_f32_e32 v7, v50, v12
	v_mad_co_u64_u32 v[12:13], null, s8, v108, 0
	v_mad_co_u64_u32 v[16:17], null, s8, v21, 0
	v_dual_fmac_f32 v15, v46, v19 :: v_dual_fmac_f32 v20, v51, v24
	v_mul_f32_e32 v11, v9, v11
	s_delay_alu instid0(VALU_DEP_4) | instskip(NEXT) | instid1(VALU_DEP_4)
	v_mad_co_u64_u32 v[18:19], null, s9, v108, v[13:14]
	v_mov_b32_e32 v13, v17
	v_fma_f32 v19, v47, v24, -v22
	s_delay_alu instid0(VALU_DEP_2) | instskip(NEXT) | instid1(VALU_DEP_4)
	v_mad_co_u64_u32 v[21:22], null, s9, v21, v[13:14]
	v_mov_b32_e32 v13, v18
	v_fma_f32 v18, v8, v10, -v11
	s_delay_alu instid0(VALU_DEP_2) | instskip(NEXT) | instid1(VALU_DEP_4)
	v_lshlrev_b64_e32 v[8:9], 3, v[12:13]
	v_mov_b32_e32 v17, v21
	v_mad_co_u64_u32 v[11:12], null, s8, v26, 0
	s_delay_alu instid0(VALU_DEP_3)
	v_add_co_u32 v21, vcc_lo, v41, v8
	v_add_nc_u32_e32 v8, 62, v106
	s_wait_alu 0xfffd
	v_add_co_ci_u32_e32 v22, vcc_lo, v42, v9, vcc_lo
	v_lshlrev_b64_e32 v[16:17], 3, v[16:17]
	global_store_b64 v[21:22], v[4:5], off
	v_mov_b32_e32 v4, v12
	v_add_co_u32 v12, vcc_lo, v41, v16
	s_wait_alu 0xfffd
	v_add_co_ci_u32_e32 v13, vcc_lo, v42, v17, vcc_lo
	s_delay_alu instid0(VALU_DEP_3)
	v_mad_co_u64_u32 v[4:5], null, s9, v26, v[4:5]
	v_mad_co_u64_u32 v[16:17], null, s8, v8, 0
	global_store_b64 v[12:13], v[0:1], off
	v_add_nc_u32_e32 v13, 0x5e, v106
                                        ; kill: def $vgpr5 killed $sgpr0 killed $exec
	v_mov_b32_e32 v12, v4
	v_mul_f32_e32 v24, v23, v25
	v_mov_b32_e32 v4, v17
	v_mul_f32_e32 v10, v45, v25
	v_mad_co_u64_u32 v[21:22], null, s8, v13, 0
	s_delay_alu instid0(VALU_DEP_4) | instskip(NEXT) | instid1(VALU_DEP_4)
	v_fma_f32 v9, v45, v18, -v24
	v_mad_co_u64_u32 v[4:5], null, s9, v8, v[4:5]
	s_delay_alu instid0(VALU_DEP_4) | instskip(SKIP_4) | instid1(VALU_DEP_4)
	v_fmac_f32_e32 v10, v23, v18
	v_add_nc_u32_e32 v18, 0x4e, v106
	v_lshlrev_b64_e32 v[11:12], 3, v[11:12]
	v_dual_mov_b32 v5, v22 :: v_dual_add_nc_u32 v8, 0x6e, v106
	v_mov_b32_e32 v17, v4
	v_mad_co_u64_u32 v[0:1], null, s8, v18, 0
	s_delay_alu instid0(VALU_DEP_4) | instskip(SKIP_3) | instid1(VALU_DEP_4)
	v_add_co_u32 v11, vcc_lo, v41, v11
	s_wait_alu 0xfffd
	v_add_co_ci_u32_e32 v12, vcc_lo, v42, v12, vcc_lo
	v_mad_co_u64_u32 v[4:5], null, s9, v13, v[5:6]
	v_mad_co_u64_u32 v[23:24], null, s9, v18, v[1:2]
	;; [unrolled: 1-line block ×3, first 2 shown]
	global_store_b64 v[11:12], v[2:3], off
                                        ; kill: def $vgpr3 killed $sgpr0 killed $exec
	v_lshlrev_b64_e32 v[11:12], 3, v[16:17]
	v_dual_mov_b32 v1, v23 :: v_dual_mov_b32 v2, v25
	s_delay_alu instid0(VALU_DEP_1) | instskip(NEXT) | instid1(VALU_DEP_2)
	v_lshlrev_b64_e32 v[0:1], 3, v[0:1]
	v_mad_co_u64_u32 v[2:3], null, s9, v8, v[2:3]
	v_mov_b32_e32 v22, v4
	v_add_co_u32 v3, vcc_lo, v41, v11
	s_wait_alu 0xfffd
	v_add_co_ci_u32_e32 v4, vcc_lo, v42, v12, vcc_lo
	v_add_co_u32 v0, vcc_lo, v41, v0
	v_mov_b32_e32 v25, v2
	v_lshlrev_b64_e32 v[11:12], 3, v[21:22]
	s_wait_alu 0xfffd
	v_add_co_ci_u32_e32 v1, vcc_lo, v42, v1, vcc_lo
	s_delay_alu instid0(VALU_DEP_3) | instskip(NEXT) | instid1(VALU_DEP_3)
	v_lshlrev_b64_e32 v[16:17], 3, v[24:25]
	v_add_co_u32 v11, vcc_lo, v41, v11
	s_wait_alu 0xfffd
	v_add_co_ci_u32_e32 v12, vcc_lo, v42, v12, vcc_lo
	s_delay_alu instid0(VALU_DEP_3)
	v_add_co_u32 v16, vcc_lo, v41, v16
	s_wait_alu 0xfffd
	v_add_co_ci_u32_e32 v17, vcc_lo, v42, v17, vcc_lo
	s_clause 0x3
	global_store_b64 v[3:4], v[6:7], off
	global_store_b64 v[0:1], v[14:15], off
	;; [unrolled: 1-line block ×4, first 2 shown]
	s_nop 0
	s_sendmsg sendmsg(MSG_DEALLOC_VGPRS)
	s_endpgm
	.section	.rodata,"a",@progbits
	.p2align	6, 0x0
	.amdhsa_kernel fft_rtc_fwd_len112_factors_4_4_7_wgs_133_tpt_7_dim2_sp_ip_CI_sbcc_twdbase8_2step_dirReg
		.amdhsa_group_segment_fixed_size 0
		.amdhsa_private_segment_fixed_size 0
		.amdhsa_kernarg_size 88
		.amdhsa_user_sgpr_count 2
		.amdhsa_user_sgpr_dispatch_ptr 0
		.amdhsa_user_sgpr_queue_ptr 0
		.amdhsa_user_sgpr_kernarg_segment_ptr 1
		.amdhsa_user_sgpr_dispatch_id 0
		.amdhsa_user_sgpr_private_segment_size 0
		.amdhsa_wavefront_size32 1
		.amdhsa_uses_dynamic_stack 0
		.amdhsa_enable_private_segment 0
		.amdhsa_system_sgpr_workgroup_id_x 1
		.amdhsa_system_sgpr_workgroup_id_y 0
		.amdhsa_system_sgpr_workgroup_id_z 0
		.amdhsa_system_sgpr_workgroup_info 0
		.amdhsa_system_vgpr_workitem_id 0
		.amdhsa_next_free_vgpr 145
		.amdhsa_next_free_sgpr 24
		.amdhsa_reserve_vcc 1
		.amdhsa_float_round_mode_32 0
		.amdhsa_float_round_mode_16_64 0
		.amdhsa_float_denorm_mode_32 3
		.amdhsa_float_denorm_mode_16_64 3
		.amdhsa_fp16_overflow 0
		.amdhsa_workgroup_processor_mode 1
		.amdhsa_memory_ordered 1
		.amdhsa_forward_progress 0
		.amdhsa_round_robin_scheduling 0
		.amdhsa_exception_fp_ieee_invalid_op 0
		.amdhsa_exception_fp_denorm_src 0
		.amdhsa_exception_fp_ieee_div_zero 0
		.amdhsa_exception_fp_ieee_overflow 0
		.amdhsa_exception_fp_ieee_underflow 0
		.amdhsa_exception_fp_ieee_inexact 0
		.amdhsa_exception_int_div_zero 0
	.end_amdhsa_kernel
	.text
.Lfunc_end0:
	.size	fft_rtc_fwd_len112_factors_4_4_7_wgs_133_tpt_7_dim2_sp_ip_CI_sbcc_twdbase8_2step_dirReg, .Lfunc_end0-fft_rtc_fwd_len112_factors_4_4_7_wgs_133_tpt_7_dim2_sp_ip_CI_sbcc_twdbase8_2step_dirReg
                                        ; -- End function
	.section	.AMDGPU.csdata,"",@progbits
; Kernel info:
; codeLenInByte = 11916
; NumSgprs: 26
; NumVgprs: 145
; ScratchSize: 0
; MemoryBound: 0
; FloatMode: 240
; IeeeMode: 1
; LDSByteSize: 0 bytes/workgroup (compile time only)
; SGPRBlocks: 3
; VGPRBlocks: 18
; NumSGPRsForWavesPerEU: 26
; NumVGPRsForWavesPerEU: 145
; Occupancy: 9
; WaveLimiterHint : 1
; COMPUTE_PGM_RSRC2:SCRATCH_EN: 0
; COMPUTE_PGM_RSRC2:USER_SGPR: 2
; COMPUTE_PGM_RSRC2:TRAP_HANDLER: 0
; COMPUTE_PGM_RSRC2:TGID_X_EN: 1
; COMPUTE_PGM_RSRC2:TGID_Y_EN: 0
; COMPUTE_PGM_RSRC2:TGID_Z_EN: 0
; COMPUTE_PGM_RSRC2:TIDIG_COMP_CNT: 0
	.text
	.p2alignl 7, 3214868480
	.fill 96, 4, 3214868480
	.type	__hip_cuid_b18b3c67d7a6a47a,@object ; @__hip_cuid_b18b3c67d7a6a47a
	.section	.bss,"aw",@nobits
	.globl	__hip_cuid_b18b3c67d7a6a47a
__hip_cuid_b18b3c67d7a6a47a:
	.byte	0                               ; 0x0
	.size	__hip_cuid_b18b3c67d7a6a47a, 1

	.ident	"AMD clang version 19.0.0git (https://github.com/RadeonOpenCompute/llvm-project roc-6.4.0 25133 c7fe45cf4b819c5991fe208aaa96edf142730f1d)"
	.section	".note.GNU-stack","",@progbits
	.addrsig
	.addrsig_sym __hip_cuid_b18b3c67d7a6a47a
	.amdgpu_metadata
---
amdhsa.kernels:
  - .args:
      - .actual_access:  read_only
        .address_space:  global
        .offset:         0
        .size:           8
        .value_kind:     global_buffer
      - .address_space:  global
        .offset:         8
        .size:           8
        .value_kind:     global_buffer
      - .actual_access:  read_only
        .address_space:  global
        .offset:         16
        .size:           8
        .value_kind:     global_buffer
      - .actual_access:  read_only
        .address_space:  global
        .offset:         24
        .size:           8
        .value_kind:     global_buffer
      - .offset:         32
        .size:           8
        .value_kind:     by_value
      - .actual_access:  read_only
        .address_space:  global
        .offset:         40
        .size:           8
        .value_kind:     global_buffer
      - .actual_access:  read_only
        .address_space:  global
        .offset:         48
        .size:           8
        .value_kind:     global_buffer
      - .offset:         56
        .size:           4
        .value_kind:     by_value
      - .actual_access:  read_only
        .address_space:  global
        .offset:         64
        .size:           8
        .value_kind:     global_buffer
      - .actual_access:  read_only
        .address_space:  global
        .offset:         72
        .size:           8
        .value_kind:     global_buffer
      - .address_space:  global
        .offset:         80
        .size:           8
        .value_kind:     global_buffer
    .group_segment_fixed_size: 0
    .kernarg_segment_align: 8
    .kernarg_segment_size: 88
    .language:       OpenCL C
    .language_version:
      - 2
      - 0
    .max_flat_workgroup_size: 133
    .name:           fft_rtc_fwd_len112_factors_4_4_7_wgs_133_tpt_7_dim2_sp_ip_CI_sbcc_twdbase8_2step_dirReg
    .private_segment_fixed_size: 0
    .sgpr_count:     26
    .sgpr_spill_count: 0
    .symbol:         fft_rtc_fwd_len112_factors_4_4_7_wgs_133_tpt_7_dim2_sp_ip_CI_sbcc_twdbase8_2step_dirReg.kd
    .uniform_work_group_size: 1
    .uses_dynamic_stack: false
    .vgpr_count:     145
    .vgpr_spill_count: 0
    .wavefront_size: 32
    .workgroup_processor_mode: 1
amdhsa.target:   amdgcn-amd-amdhsa--gfx1201
amdhsa.version:
  - 1
  - 2
...

	.end_amdgpu_metadata
